;; amdgpu-corpus repo=ROCm/rocFFT kind=compiled arch=gfx906 opt=O3
	.text
	.amdgcn_target "amdgcn-amd-amdhsa--gfx906"
	.amdhsa_code_object_version 6
	.protected	bluestein_single_fwd_len160_dim1_half_op_CI_CI ; -- Begin function bluestein_single_fwd_len160_dim1_half_op_CI_CI
	.globl	bluestein_single_fwd_len160_dim1_half_op_CI_CI
	.p2align	8
	.type	bluestein_single_fwd_len160_dim1_half_op_CI_CI,@function
bluestein_single_fwd_len160_dim1_half_op_CI_CI: ; @bluestein_single_fwd_len160_dim1_half_op_CI_CI
; %bb.0:
	s_load_dwordx4 s[0:3], s[4:5], 0x28
	v_lshrrev_b32_e32 v1, 4, v0
	v_lshl_or_b32 v8, s6, 4, v1
	v_mov_b32_e32 v9, 0
	s_waitcnt lgkmcnt(0)
	v_cmp_gt_u64_e32 vcc, s[0:1], v[8:9]
	s_and_saveexec_b64 s[0:1], vcc
	s_cbranch_execz .LBB0_15
; %bb.1:
	s_load_dwordx2 s[6:7], s[4:5], 0x0
	s_load_dwordx2 s[12:13], s[4:5], 0x38
	v_and_b32_e32 v25, 15, v0
	v_mul_u32_u24_e32 v27, 0xa0, v1
	v_cmp_gt_u32_e32 vcc, 10, v25
	v_lshlrev_b32_e32 v23, 2, v25
	v_or_b32_e32 v15, v27, v25
	v_add_lshl_u32 v1, v27, v25, 2
	s_and_saveexec_b64 s[8:9], vcc
	s_cbranch_execz .LBB0_3
; %bb.2:
	s_load_dwordx2 s[0:1], s[4:5], 0x18
	v_lshlrev_b32_e32 v12, 2, v15
	s_waitcnt lgkmcnt(0)
	s_load_dwordx4 s[16:19], s[0:1], 0x0
	s_waitcnt lgkmcnt(0)
	v_mad_u64_u32 v[2:3], s[0:1], s18, v8, 0
	v_mad_u64_u32 v[4:5], s[0:1], s16, v25, 0
	v_mov_b32_e32 v0, v3
	v_mov_b32_e32 v3, v5
	v_mad_u64_u32 v[5:6], s[0:1], s19, v8, v[0:1]
	v_mad_u64_u32 v[6:7], s[0:1], s17, v25, v[3:4]
	v_mov_b32_e32 v3, v5
	v_lshlrev_b64 v[2:3], 2, v[2:3]
	v_mov_b32_e32 v5, v6
	v_mov_b32_e32 v0, s3
	v_lshlrev_b64 v[4:5], 2, v[4:5]
	v_add_co_u32_e64 v2, s[0:1], s2, v2
	v_addc_co_u32_e64 v0, s[0:1], v0, v3, s[0:1]
	v_add_co_u32_e64 v2, s[0:1], v2, v4
	v_addc_co_u32_e64 v3, s[0:1], v0, v5, s[0:1]
	s_mul_i32 s0, s17, 40
	s_mul_hi_u32 s3, s16, 40
	s_add_i32 s3, s3, s0
	s_mul_i32 s2, s16, 40
	v_mov_b32_e32 v0, s3
	v_add_co_u32_e64 v4, s[0:1], s2, v2
	v_addc_co_u32_e64 v5, s[0:1], v3, v0, s[0:1]
	global_load_dword v0, v[2:3], off
	global_load_dword v6, v[4:5], off
	global_load_dword v7, v23, s[6:7]
	global_load_dword v9, v23, s[6:7] offset:40
	v_mov_b32_e32 v3, s3
	v_add_co_u32_e64 v2, s[0:1], s2, v4
	v_addc_co_u32_e64 v3, s[0:1], v5, v3, s[0:1]
	global_load_dword v4, v[2:3], off
	global_load_dword v5, v23, s[6:7] offset:80
	v_mov_b32_e32 v10, s3
	v_add_co_u32_e64 v2, s[0:1], s2, v2
	v_addc_co_u32_e64 v3, s[0:1], v3, v10, s[0:1]
	global_load_dword v10, v[2:3], off
	global_load_dword v11, v23, s[6:7] offset:120
	v_mov_b32_e32 v18, s3
	v_add_co_u32_e64 v2, s[0:1], s2, v2
	v_addc_co_u32_e64 v3, s[0:1], v3, v18, s[0:1]
	global_load_dword v13, v23, s[6:7] offset:160
	global_load_dword v14, v23, s[6:7] offset:200
	;; [unrolled: 1-line block ×4, first 2 shown]
	global_load_dword v18, v[2:3], off
	v_mov_b32_e32 v19, s3
	v_add_co_u32_e64 v2, s[0:1], s2, v2
	v_addc_co_u32_e64 v3, s[0:1], v3, v19, s[0:1]
	global_load_dword v19, v[2:3], off
	v_mov_b32_e32 v20, s3
	v_add_co_u32_e64 v2, s[0:1], s2, v2
	v_addc_co_u32_e64 v3, s[0:1], v3, v20, s[0:1]
	;; [unrolled: 4-line block ×5, first 2 shown]
	v_mov_b32_e32 v31, s3
	v_mov_b32_e32 v34, s3
	;; [unrolled: 1-line block ×3, first 2 shown]
	s_waitcnt vmcnt(16)
	v_lshrrev_b32_e32 v26, 16, v0
	s_waitcnt vmcnt(14)
	v_mul_f16_sdwa v28, v7, v0 dst_sel:DWORD dst_unused:UNUSED_PAD src0_sel:WORD_1 src1_sel:DWORD
	v_mul_f16_sdwa v29, v7, v26 dst_sel:DWORD dst_unused:UNUSED_PAD src0_sel:WORD_1 src1_sel:DWORD
	v_fma_f16 v26, v7, v26, -v28
	v_lshrrev_b32_e32 v28, 16, v6
	s_waitcnt vmcnt(13)
	v_mul_f16_sdwa v30, v9, v6 dst_sel:DWORD dst_unused:UNUSED_PAD src0_sel:WORD_1 src1_sel:DWORD
	v_fma_f16 v0, v7, v0, v29
	v_mul_f16_sdwa v7, v9, v28 dst_sel:DWORD dst_unused:UNUSED_PAD src0_sel:WORD_1 src1_sel:DWORD
	v_fma_f16 v28, v9, v28, -v30
	v_pack_b32_f16 v0, v0, v26
	v_fma_f16 v6, v9, v6, v7
	ds_write_b32 v12, v0
	v_pack_b32_f16 v0, v6, v28
	global_load_dword v6, v23, s[6:7] offset:320
	s_waitcnt vmcnt(13)
	v_lshrrev_b32_e32 v29, 16, v4
	s_waitcnt vmcnt(12)
	v_mul_f16_sdwa v7, v5, v29 dst_sel:DWORD dst_unused:UNUSED_PAD src0_sel:WORD_1 src1_sel:DWORD
	v_mul_f16_sdwa v30, v5, v4 dst_sel:DWORD dst_unused:UNUSED_PAD src0_sel:WORD_1 src1_sel:DWORD
	v_fma_f16 v4, v5, v4, v7
	global_load_dword v7, v[2:3], off
	global_load_dword v12, v23, s[6:7] offset:360
	v_add_co_u32_e64 v2, s[0:1], s2, v2
	v_addc_co_u32_e64 v3, s[0:1], v3, v24, s[0:1]
	global_load_dword v24, v[2:3], off
	v_fma_f16 v9, v5, v29, -v30
	v_mov_b32_e32 v28, s3
	global_load_dword v30, v23, s[6:7] offset:400
	global_load_dword v32, v23, s[6:7] offset:440
	v_add_co_u32_e64 v2, s[0:1], s2, v2
	v_addc_co_u32_e64 v3, s[0:1], v3, v28, s[0:1]
	global_load_dword v28, v[2:3], off
	v_add_co_u32_e64 v2, s[0:1], s2, v2
	v_addc_co_u32_e64 v3, s[0:1], v3, v31, s[0:1]
	global_load_dword v31, v[2:3], off
	global_load_dword v33, v23, s[6:7] offset:480
	v_add_co_u32_e64 v2, s[0:1], s2, v2
	v_addc_co_u32_e64 v3, s[0:1], v3, v34, s[0:1]
	global_load_dword v34, v[2:3], off
	global_load_dword v36, v23, s[6:7] offset:520
	;; [unrolled: 4-line block ×4, first 2 shown]
	s_waitcnt vmcnt(25)
	v_lshrrev_b32_e32 v26, 16, v10
	s_waitcnt vmcnt(24)
	v_mul_f16_sdwa v29, v11, v10 dst_sel:DWORD dst_unused:UNUSED_PAD src0_sel:WORD_1 src1_sel:DWORD
	v_mul_f16_sdwa v5, v11, v26 dst_sel:DWORD dst_unused:UNUSED_PAD src0_sel:WORD_1 src1_sel:DWORD
	v_fma_f16 v2, v11, v26, -v29
	v_fma_f16 v3, v11, v10, v5
	ds_write_b32 v1, v0 offset:40
	v_lshl_add_u32 v0, v27, 2, v23
	v_pack_b32_f16 v4, v4, v9
	v_pack_b32_f16 v2, v3, v2
	ds_write2_b32 v0, v4, v2 offset0:20 offset1:30
	s_waitcnt vmcnt(19)
	v_lshrrev_b32_e32 v2, 16, v18
	v_mul_f16_sdwa v3, v13, v2 dst_sel:DWORD dst_unused:UNUSED_PAD src0_sel:WORD_1 src1_sel:DWORD
	v_mul_f16_sdwa v4, v13, v18 dst_sel:DWORD dst_unused:UNUSED_PAD src0_sel:WORD_1 src1_sel:DWORD
	v_fma_f16 v3, v13, v18, v3
	v_fma_f16 v2, v13, v2, -v4
	v_pack_b32_f16 v2, v3, v2
	s_waitcnt vmcnt(18)
	v_lshrrev_b32_e32 v3, 16, v19
	v_mul_f16_sdwa v4, v14, v3 dst_sel:DWORD dst_unused:UNUSED_PAD src0_sel:WORD_1 src1_sel:DWORD
	v_mul_f16_sdwa v5, v14, v19 dst_sel:DWORD dst_unused:UNUSED_PAD src0_sel:WORD_1 src1_sel:DWORD
	v_fma_f16 v4, v14, v19, v4
	v_fma_f16 v3, v14, v3, -v5
	v_pack_b32_f16 v3, v4, v3
	ds_write2_b32 v0, v2, v3 offset0:40 offset1:50
	s_waitcnt vmcnt(17)
	v_lshrrev_b32_e32 v2, 16, v20
	v_mul_f16_sdwa v3, v16, v2 dst_sel:DWORD dst_unused:UNUSED_PAD src0_sel:WORD_1 src1_sel:DWORD
	v_mul_f16_sdwa v4, v16, v20 dst_sel:DWORD dst_unused:UNUSED_PAD src0_sel:WORD_1 src1_sel:DWORD
	v_fma_f16 v3, v16, v20, v3
	v_fma_f16 v2, v16, v2, -v4
	v_pack_b32_f16 v2, v3, v2
	s_waitcnt vmcnt(16)
	v_lshrrev_b32_e32 v3, 16, v21
	v_mul_f16_sdwa v4, v17, v3 dst_sel:DWORD dst_unused:UNUSED_PAD src0_sel:WORD_1 src1_sel:DWORD
	v_mul_f16_sdwa v5, v17, v21 dst_sel:DWORD dst_unused:UNUSED_PAD src0_sel:WORD_1 src1_sel:DWORD
	v_fma_f16 v4, v17, v21, v4
	v_fma_f16 v3, v17, v3, -v5
	v_pack_b32_f16 v3, v4, v3
	ds_write2_b32 v0, v2, v3 offset0:60 offset1:70
	s_waitcnt vmcnt(15)
	v_lshrrev_b32_e32 v2, 16, v22
	s_waitcnt vmcnt(14)
	v_mul_f16_sdwa v3, v6, v2 dst_sel:DWORD dst_unused:UNUSED_PAD src0_sel:WORD_1 src1_sel:DWORD
	v_mul_f16_sdwa v4, v6, v22 dst_sel:DWORD dst_unused:UNUSED_PAD src0_sel:WORD_1 src1_sel:DWORD
	v_fma_f16 v3, v6, v22, v3
	v_fma_f16 v2, v6, v2, -v4
	v_pack_b32_f16 v2, v3, v2
	s_waitcnt vmcnt(13)
	v_lshrrev_b32_e32 v3, 16, v7
	s_waitcnt vmcnt(12)
	v_mul_f16_sdwa v4, v12, v3 dst_sel:DWORD dst_unused:UNUSED_PAD src0_sel:WORD_1 src1_sel:DWORD
	v_mul_f16_sdwa v5, v12, v7 dst_sel:DWORD dst_unused:UNUSED_PAD src0_sel:WORD_1 src1_sel:DWORD
	v_fma_f16 v4, v12, v7, v4
	v_fma_f16 v3, v12, v3, -v5
	v_pack_b32_f16 v3, v4, v3
	ds_write2_b32 v0, v2, v3 offset0:80 offset1:90
	s_waitcnt vmcnt(11)
	v_lshrrev_b32_e32 v2, 16, v24
	s_waitcnt vmcnt(10)
	v_mul_f16_sdwa v3, v30, v2 dst_sel:DWORD dst_unused:UNUSED_PAD src0_sel:WORD_1 src1_sel:DWORD
	v_mul_f16_sdwa v4, v30, v24 dst_sel:DWORD dst_unused:UNUSED_PAD src0_sel:WORD_1 src1_sel:DWORD
	v_fma_f16 v3, v30, v24, v3
	v_fma_f16 v2, v30, v2, -v4
	v_pack_b32_f16 v2, v3, v2
	s_waitcnt vmcnt(8)
	v_lshrrev_b32_e32 v3, 16, v28
	v_mul_f16_sdwa v4, v32, v3 dst_sel:DWORD dst_unused:UNUSED_PAD src0_sel:WORD_1 src1_sel:DWORD
	v_mul_f16_sdwa v5, v32, v28 dst_sel:DWORD dst_unused:UNUSED_PAD src0_sel:WORD_1 src1_sel:DWORD
	v_fma_f16 v4, v32, v28, v4
	v_fma_f16 v3, v32, v3, -v5
	v_pack_b32_f16 v3, v4, v3
	ds_write2_b32 v0, v2, v3 offset0:100 offset1:110
	s_waitcnt vmcnt(7)
	v_lshrrev_b32_e32 v2, 16, v31
	s_waitcnt vmcnt(6)
	v_mul_f16_sdwa v3, v33, v2 dst_sel:DWORD dst_unused:UNUSED_PAD src0_sel:WORD_1 src1_sel:DWORD
	v_mul_f16_sdwa v4, v33, v31 dst_sel:DWORD dst_unused:UNUSED_PAD src0_sel:WORD_1 src1_sel:DWORD
	v_fma_f16 v3, v33, v31, v3
	v_fma_f16 v2, v33, v2, -v4
	v_pack_b32_f16 v2, v3, v2
	s_waitcnt vmcnt(5)
	v_lshrrev_b32_e32 v3, 16, v34
	s_waitcnt vmcnt(4)
	v_mul_f16_sdwa v4, v36, v3 dst_sel:DWORD dst_unused:UNUSED_PAD src0_sel:WORD_1 src1_sel:DWORD
	v_mul_f16_sdwa v5, v36, v34 dst_sel:DWORD dst_unused:UNUSED_PAD src0_sel:WORD_1 src1_sel:DWORD
	v_fma_f16 v4, v36, v34, v4
	v_fma_f16 v3, v36, v3, -v5
	v_pack_b32_f16 v3, v4, v3
	ds_write2_b32 v0, v2, v3 offset0:120 offset1:130
	s_waitcnt vmcnt(3)
	v_lshrrev_b32_e32 v2, 16, v37
	s_waitcnt vmcnt(2)
	v_mul_f16_sdwa v3, v38, v2 dst_sel:DWORD dst_unused:UNUSED_PAD src0_sel:WORD_1 src1_sel:DWORD
	v_mul_f16_sdwa v4, v38, v37 dst_sel:DWORD dst_unused:UNUSED_PAD src0_sel:WORD_1 src1_sel:DWORD
	v_fma_f16 v3, v38, v37, v3
	v_fma_f16 v2, v38, v2, -v4
	v_pack_b32_f16 v2, v3, v2
	s_waitcnt vmcnt(1)
	v_lshrrev_b32_e32 v3, 16, v35
	s_waitcnt vmcnt(0)
	v_mul_f16_sdwa v4, v39, v3 dst_sel:DWORD dst_unused:UNUSED_PAD src0_sel:WORD_1 src1_sel:DWORD
	v_mul_f16_sdwa v5, v39, v35 dst_sel:DWORD dst_unused:UNUSED_PAD src0_sel:WORD_1 src1_sel:DWORD
	v_fma_f16 v4, v39, v35, v4
	v_fma_f16 v3, v39, v3, -v5
	v_pack_b32_f16 v3, v4, v3
	ds_write2_b32 v0, v2, v3 offset0:140 offset1:150
.LBB0_3:
	s_or_b64 exec, exec, s[8:9]
	s_load_dwordx2 s[2:3], s[4:5], 0x20
	s_load_dwordx2 s[0:1], s[4:5], 0x8
	v_lshlrev_b32_e32 v24, 2, v27
	s_waitcnt lgkmcnt(0)
	s_barrier
	s_waitcnt lgkmcnt(0)
                                        ; implicit-def: $vgpr16
                                        ; implicit-def: $vgpr6
                                        ; implicit-def: $vgpr2
                                        ; implicit-def: $vgpr11
                                        ; implicit-def: $vgpr0
                                        ; implicit-def: $vgpr9
                                        ; implicit-def: $vgpr4
                                        ; implicit-def: $vgpr13
                                        ; implicit-def: $vgpr17
	s_and_saveexec_b64 s[4:5], vcc
	s_cbranch_execz .LBB0_5
; %bb.4:
	v_lshlrev_b32_e32 v0, 2, v15
	v_lshl_add_u32 v13, v25, 2, v24
	ds_read_b32 v16, v0
	ds_read_b32 v17, v1 offset:40
	ds_read2_b32 v[0:1], v13 offset0:20 offset1:30
	ds_read2_b32 v[2:3], v13 offset0:40 offset1:50
	;; [unrolled: 1-line block ×7, first 2 shown]
.LBB0_5:
	s_or_b64 exec, exec, s[4:5]
	s_waitcnt lgkmcnt(3)
	v_pk_add_f16 v28, v16, v6 neg_lo:[0,1] neg_hi:[0,1]
	s_waitcnt lgkmcnt(1)
	v_pk_add_f16 v30, v2, v11 neg_lo:[0,1] neg_hi:[0,1]
	v_pk_add_f16 v9, v0, v9 neg_lo:[0,1] neg_hi:[0,1]
	s_waitcnt lgkmcnt(0)
	v_pk_add_f16 v13, v4, v13 neg_lo:[0,1] neg_hi:[0,1]
	v_pk_add_f16 v31, v17, v7 neg_lo:[0,1] neg_hi:[0,1]
	;; [unrolled: 1-line block ×5, first 2 shown]
	v_sub_f16_sdwa v21, v28, v30 dst_sel:DWORD dst_unused:UNUSED_PAD src0_sel:DWORD src1_sel:WORD_1
	v_lshrrev_b32_e32 v6, 16, v28
	v_sub_f16_sdwa v29, v9, v13 dst_sel:DWORD dst_unused:UNUSED_PAD src0_sel:DWORD src1_sel:WORD_1
	v_lshrrev_b32_e32 v11, 16, v9
	v_add_f16_e32 v22, v30, v6
	v_fma_f16 v7, v28, 2.0, -v21
	v_add_f16_e32 v26, v13, v11
	v_fma_f16 v19, v9, 2.0, -v29
	v_sub_f16_sdwa v34, v10, v14 dst_sel:DWORD dst_unused:UNUSED_PAD src0_sel:DWORD src1_sel:WORD_1
	s_mov_b32 s4, 0xb9a8
	v_pk_fma_f16 v0, v0, 2.0, v9 op_sel_hi:[1,0,1] neg_lo:[0,0,1] neg_hi:[0,0,1]
	v_pk_fma_f16 v9, v17, 2.0, v31 op_sel_hi:[1,0,1] neg_lo:[0,0,1] neg_hi:[0,0,1]
	;; [unrolled: 1-line block ×3, first 2 shown]
	v_fma_f16 v6, v6, 2.0, -v22
	v_fma_f16 v20, v11, 2.0, -v26
	v_sub_f16_sdwa v32, v31, v12 dst_sel:DWORD dst_unused:UNUSED_PAD src0_sel:DWORD src1_sel:WORD_1
	v_lshrrev_b32_e32 v11, 16, v31
	v_lshrrev_b32_e32 v35, 16, v10
	v_fma_f16 v39, v10, 2.0, -v34
	v_fma_f16 v37, v19, s4, v7
	s_movk_i32 s5, 0x39a8
	v_pk_fma_f16 v16, v16, 2.0, v28 op_sel_hi:[1,0,1] neg_lo:[0,0,1] neg_hi:[0,0,1]
	v_pk_fma_f16 v2, v2, 2.0, v30 op_sel_hi:[1,0,1] neg_lo:[0,0,1] neg_hi:[0,0,1]
	;; [unrolled: 1-line block ×5, first 2 shown]
	v_pk_add_f16 v13, v9, v3 neg_lo:[0,1] neg_hi:[0,1]
	v_add_f16_e32 v33, v12, v11
	v_fma_f16 v18, v31, 2.0, -v32
	v_add_f16_e32 v36, v14, v35
	v_fma_f16 v38, v20, s4, v6
	v_fma_f16 v20, v20, s4, v37
	v_fma_f16 v37, v29, s5, v21
	v_pk_add_f16 v12, v16, v2 neg_lo:[0,1] neg_hi:[0,1]
	v_pk_add_f16 v4, v0, v4 neg_lo:[0,1] neg_hi:[0,1]
	v_pk_fma_f16 v2, v9, 2.0, v13 op_sel_hi:[1,0,1] neg_lo:[0,0,1] neg_hi:[0,0,1]
	v_pk_add_f16 v9, v10, v5 neg_lo:[0,1] neg_hi:[0,1]
	v_fma_f16 v11, v11, 2.0, -v33
	v_fma_f16 v35, v35, 2.0, -v36
	v_fma_f16 v19, v19, s5, v38
	v_fma_f16 v38, v26, s5, v22
	;; [unrolled: 1-line block ×3, first 2 shown]
	v_pk_fma_f16 v3, v10, 2.0, v9 op_sel_hi:[1,0,1] neg_lo:[0,0,1] neg_hi:[0,0,1]
	v_sub_f16_sdwa v37, v12, v4 dst_sel:DWORD dst_unused:UNUSED_PAD src0_sel:DWORD src1_sel:WORD_1
	v_lshrrev_b32_e32 v5, 16, v12
	v_fma_f16 v10, v39, s4, v18
	v_fma_f16 v29, v29, s5, v38
	v_pk_fma_f16 v1, v16, 2.0, v12 op_sel_hi:[1,0,1] neg_lo:[0,0,1] neg_hi:[0,0,1]
	v_pk_fma_f16 v0, v0, 2.0, v4 op_sel_hi:[1,0,1] neg_lo:[0,0,1] neg_hi:[0,0,1]
	v_add_f16_e32 v38, v4, v5
	v_fma_f16 v4, v12, 2.0, -v37
	v_fma_f16 v12, v35, s4, v11
	v_fma_f16 v17, v35, s4, v10
	v_lshrrev_b32_e32 v10, 16, v13
	v_fma_f16 v16, v39, s5, v12
	v_sub_f16_sdwa v28, v13, v9 dst_sel:DWORD dst_unused:UNUSED_PAD src0_sel:DWORD src1_sel:WORD_1
	v_add_f16_e32 v30, v9, v10
	v_fma_f16 v12, v34, s5, v32
	v_fma_f16 v5, v5, 2.0, -v38
	v_fma_f16 v9, v13, 2.0, -v28
	v_fma_f16 v10, v10, 2.0, -v30
	v_fma_f16 v13, v36, s5, v33
	v_fma_f16 v39, v36, s4, v12
	v_fma_f16 v21, v21, 2.0, -v26
	v_fma_f16 v34, v34, s5, v13
	v_fma_f16 v13, v32, 2.0, -v39
	v_fma_f16 v31, v10, s4, v5
	s_mov_b32 s8, 0xb61f
	v_fma_f16 v22, v22, 2.0, -v29
	v_fma_f16 v14, v33, 2.0, -v34
	v_fma_f16 v12, v9, s4, v4
	v_fma_f16 v33, v9, s5, v31
	v_fma_f16 v9, v13, s8, v21
	s_mov_b32 s9, 0xbb64
	s_movk_i32 s10, 0x361f
	v_fma_f16 v12, v10, s4, v12
	v_fma_f16 v10, v14, s8, v22
	;; [unrolled: 1-line block ×3, first 2 shown]
	s_movk_i32 s11, 0x3b64
	v_fma_f16 v14, v16, s10, v19
	v_fma_f16 v31, v17, s11, v14
	v_fma_f16 v14, v28, s5, v37
	v_fma_f16 v14, v30, s4, v14
	v_fma_f16 v30, v30, s5, v38
	v_pk_add_f16 v0, v1, v0 neg_lo:[0,1] neg_hi:[0,1]
	v_pk_add_f16 v3, v2, v3 neg_lo:[0,1] neg_hi:[0,1]
	v_fma_f16 v32, v13, s11, v10
	v_fma_f16 v13, v17, s10, v20
	v_fma_f16 v35, v28, s5, v30
	v_fma_f16 v28, v39, s11, v26
	v_fma_f16 v40, v34, s11, v29
	v_pk_add_f16 v10, v0, v3 op_sel:[0,1] op_sel_hi:[1,0] neg_lo:[0,1] neg_hi:[0,1]
	v_pk_add_f16 v36, v0, v3 op_sel:[0,1] op_sel_hi:[1,0]
	v_fma_f16 v13, v16, s9, v13
	v_fma_f16 v30, v34, s8, v28
	;; [unrolled: 1-line block ×3, first 2 shown]
	v_lshlrev_b32_e32 v28, 4, v25
	s_barrier
	s_and_saveexec_b64 s[4:5], vcc
	s_cbranch_execz .LBB0_7
; %bb.6:
	v_fma_f16 v42, v5, 2.0, -v33
	v_fma_f16 v5, v7, 2.0, -v20
	;; [unrolled: 1-line block ×3, first 2 shown]
	v_fma_f16 v17, v7, s9, v5
	v_fma_f16 v11, v11, 2.0, -v16
	v_fma_f16 v6, v6, 2.0, -v19
	v_fma_f16 v16, v11, s8, v17
	v_fma_f16 v11, v11, s9, v6
	;; [unrolled: 1-line block ×3, first 2 shown]
	v_pk_fma_f16 v17, v1, 2.0, v0 op_sel_hi:[1,0,1] neg_lo:[0,0,1] neg_hi:[0,0,1]
	v_pk_fma_f16 v1, v2, 2.0, v3 op_sel_hi:[1,0,1] neg_lo:[0,0,1] neg_hi:[0,0,1]
	s_mov_b32 s11, 0xffff
	v_fma_f16 v21, v21, 2.0, -v9
	v_fma_f16 v22, v22, 2.0, -v32
	;; [unrolled: 1-line block ×5, first 2 shown]
	v_pk_add_f16 v1, v17, v1 neg_lo:[0,1] neg_hi:[0,1]
	v_bfi_b32 v39, s11, v10, v36
	v_fma_f16 v26, v26, 2.0, -v30
	v_fma_f16 v29, v29, 2.0, -v34
	;; [unrolled: 1-line block ×6, first 2 shown]
	v_add_lshl_u32 v11, v27, v28, 2
	v_pk_fma_f16 v2, v17, 2.0, v1 op_sel_hi:[1,0,1] neg_lo:[0,0,1] neg_hi:[0,0,1]
	v_pack_b32_f16 v3, v5, v6
	v_pack_b32_f16 v5, v21, v22
	;; [unrolled: 1-line block ×3, first 2 shown]
	ds_write_b128 v11, v[2:5]
	v_pk_fma_f16 v2, v0, 2.0, v39 op_sel_hi:[1,0,1] neg_lo:[0,0,1] neg_hi:[0,0,1]
	v_pack_b32_f16 v5, v26, v29
	v_pack_b32_f16 v4, v37, v38
	;; [unrolled: 1-line block ×3, first 2 shown]
	s_mov_b32 s8, 0x5040100
	ds_write_b128 v11, v[2:5] offset:16
	v_pack_b32_f16 v2, v16, v7
	v_perm_b32 v4, v32, v9, s8
	v_perm_b32 v3, v33, v12, s8
	;; [unrolled: 1-line block ×5, first 2 shown]
	ds_write_b128 v11, v[1:4] offset:32
	ds_write_b128 v11, v[39:42] offset:48
.LBB0_7:
	s_or_b64 exec, exec, s[4:5]
	v_mad_u64_u32 v[16:17], s[0:1], v25, 36, s[0:1]
	s_load_dwordx4 s[8:11], s[2:3], 0x0
	s_waitcnt lgkmcnt(0)
	s_barrier
	global_load_dwordx4 v[0:3], v[16:17], off
	global_load_dwordx4 v[4:7], v[16:17], off offset:16
	global_load_dword v29, v[16:17], off offset:32
	v_lshlrev_b32_e32 v26, 2, v15
	ds_read2_b32 v[15:16], v26 offset1:16
	ds_read2_b32 v[17:18], v26 offset0:32 offset1:48
	ds_read2_b32 v[19:20], v26 offset0:64 offset1:80
	;; [unrolled: 1-line block ×4, first 2 shown]
	s_waitcnt lgkmcnt(4)
	v_lshrrev_b32_e32 v39, 16, v16
	s_waitcnt lgkmcnt(3)
	v_lshrrev_b32_e32 v40, 16, v17
	;; [unrolled: 2-line block ×5, first 2 shown]
	v_lshrrev_b32_e32 v41, 16, v18
	v_lshrrev_b32_e32 v43, 16, v20
	s_movk_i32 s3, 0x3b9c
	s_mov_b32 s1, 0xbb9c
	v_lshrrev_b32_e32 v11, 16, v15
	s_mov_b32 s0, 0xb8b4
	s_movk_i32 s4, 0x38b4
	s_movk_i32 s2, 0x34f2
	v_lshrrev_b32_e32 v45, 16, v22
	v_lshrrev_b32_e32 v47, 16, v38
	s_movk_i32 s5, 0x3a79
	v_lshl_add_u32 v24, v25, 2, v24
	s_waitcnt vmcnt(2)
	v_mul_f16_sdwa v50, v40, v1 dst_sel:DWORD dst_unused:UNUSED_PAD src0_sel:DWORD src1_sel:WORD_1
	v_mul_f16_sdwa v54, v42, v3 dst_sel:DWORD dst_unused:UNUSED_PAD src0_sel:DWORD src1_sel:WORD_1
	s_waitcnt vmcnt(1)
	v_mul_f16_sdwa v58, v44, v5 dst_sel:DWORD dst_unused:UNUSED_PAD src0_sel:DWORD src1_sel:WORD_1
	v_mul_f16_sdwa v62, v46, v7 dst_sel:DWORD dst_unused:UNUSED_PAD src0_sel:DWORD src1_sel:WORD_1
	;; [unrolled: 1-line block ×7, first 2 shown]
	v_fma_f16 v17, v17, v1, -v50
	v_fma_f16 v19, v19, v3, -v54
	;; [unrolled: 1-line block ×4, first 2 shown]
	v_mul_f16_sdwa v48, v39, v0 dst_sel:DWORD dst_unused:UNUSED_PAD src0_sel:DWORD src1_sel:WORD_1
	v_mul_f16_sdwa v52, v41, v2 dst_sel:DWORD dst_unused:UNUSED_PAD src0_sel:DWORD src1_sel:WORD_1
	;; [unrolled: 1-line block ×4, first 2 shown]
	v_fma_f16 v39, v39, v0, v49
	v_fma_f16 v42, v42, v3, v55
	;; [unrolled: 1-line block ×3, first 2 shown]
	v_add_f16_e32 v49, v19, v21
	v_add_f16_e32 v54, v17, v37
	v_mul_f16_sdwa v57, v20, v4 dst_sel:DWORD dst_unused:UNUSED_PAD src0_sel:DWORD src1_sel:WORD_1
	v_fma_f16 v18, v18, v2, -v52
	v_fma_f16 v20, v20, v4, -v56
	v_fma_f16 v40, v40, v1, v51
	v_fma_f16 v41, v41, v2, v53
	v_fma_f16 v16, v16, v0, -v48
	v_fma_f16 v46, v46, v7, v63
	v_add_f16_e32 v48, v15, v17
	v_sub_f16_e32 v51, v42, v44
	v_sub_f16_e32 v52, v17, v19
	v_sub_f16_e32 v53, v37, v21
	v_sub_f16_e32 v55, v19, v17
	v_sub_f16_e32 v56, v21, v37
	v_fma_f16 v49, v49, -0.5, v15
	v_fma_f16 v15, v54, -0.5, v15
	v_sub_f16_e32 v50, v40, v46
	v_add_f16_e32 v52, v52, v53
	v_add_f16_e32 v53, v55, v56
	v_fma_f16 v55, v51, s1, v15
	v_fma_f16 v15, v51, s3, v15
	v_fma_f16 v15, v50, s0, v15
	v_fma_f16 v54, v50, s3, v49
	v_fma_f16 v49, v50, s1, v49
	v_fma_f16 v55, v50, s4, v55
	v_fma_f16 v50, v53, s2, v15
	v_add_f16_e32 v15, v11, v40
	v_add_f16_e32 v15, v15, v42
	;; [unrolled: 1-line block ×4, first 2 shown]
	v_fma_f16 v54, v51, s4, v54
	v_fma_f16 v49, v51, s0, v49
	v_add_f16_e32 v51, v15, v46
	v_add_f16_e32 v15, v42, v44
	;; [unrolled: 1-line block ×3, first 2 shown]
	v_fma_f16 v15, v15, -0.5, v11
	v_sub_f16_e32 v17, v17, v37
	v_add_f16_e32 v48, v48, v37
	v_fma_f16 v37, v17, s1, v15
	v_sub_f16_e32 v19, v19, v21
	v_fma_f16 v54, v52, s2, v54
	v_fma_f16 v49, v52, s2, v49
	;; [unrolled: 1-line block ×4, first 2 shown]
	v_sub_f16_e32 v37, v40, v42
	v_sub_f16_e32 v53, v46, v44
	v_fma_f16 v15, v17, s3, v15
	v_add_f16_e32 v37, v37, v53
	v_fma_f16 v15, v19, s4, v15
	v_fma_f16 v55, v37, s2, v15
	v_add_f16_e32 v15, v40, v46
	v_fma_f16 v11, v15, -0.5, v11
	v_mul_f16_sdwa v60, v45, v6 dst_sel:DWORD dst_unused:UNUSED_PAD src0_sel:DWORD src1_sel:WORD_1
	v_fma_f16 v53, v37, s2, v21
	v_fma_f16 v15, v19, s3, v11
	v_sub_f16_e32 v21, v42, v40
	v_sub_f16_e32 v37, v44, v46
	v_mul_f16_sdwa v61, v22, v6 dst_sel:DWORD dst_unused:UNUSED_PAD src0_sel:DWORD src1_sel:WORD_1
	s_waitcnt vmcnt(0)
	v_mul_f16_sdwa v65, v38, v29 dst_sel:DWORD dst_unused:UNUSED_PAD src0_sel:DWORD src1_sel:WORD_1
	v_fma_f16 v22, v22, v6, -v60
	v_fma_f16 v15, v17, s0, v15
	v_add_f16_e32 v21, v21, v37
	v_mul_f16_sdwa v64, v47, v29 dst_sel:DWORD dst_unused:UNUSED_PAD src0_sel:DWORD src1_sel:WORD_1
	v_fma_f16 v47, v47, v29, v65
	v_fma_f16 v46, v21, s2, v15
	;; [unrolled: 1-line block ×3, first 2 shown]
	v_add_f16_e32 v15, v20, v22
	v_fma_f16 v43, v43, v4, v57
	v_fma_f16 v45, v45, v6, v61
	v_fma_f16 v38, v38, v29, -v64
	v_fma_f16 v11, v17, s4, v11
	v_fma_f16 v15, v15, -0.5, v16
	v_sub_f16_e32 v17, v41, v47
	v_fma_f16 v56, v21, s2, v11
	v_fma_f16 v19, v17, s3, v15
	v_sub_f16_e32 v21, v43, v45
	v_sub_f16_e32 v37, v18, v20
	;; [unrolled: 1-line block ×3, first 2 shown]
	v_fma_f16 v15, v17, s1, v15
	v_add_f16_e32 v37, v37, v40
	v_fma_f16 v15, v21, s0, v15
	v_fma_f16 v44, v37, s2, v15
	v_add_f16_e32 v15, v18, v38
	v_fma_f16 v19, v21, s4, v19
	v_fma_f16 v15, v15, -0.5, v16
	v_add_f16_e32 v11, v16, v18
	v_fma_f16 v19, v37, s2, v19
	v_fma_f16 v16, v21, s1, v15
	v_sub_f16_e32 v37, v20, v18
	v_sub_f16_e32 v40, v22, v38
	v_fma_f16 v15, v21, s3, v15
	v_add_f16_e32 v37, v37, v40
	v_fma_f16 v15, v17, s0, v15
	v_fma_f16 v21, v37, s2, v15
	v_add_f16_e32 v15, v39, v41
	v_add_f16_e32 v15, v15, v43
	;; [unrolled: 1-line block ×3, first 2 shown]
	v_fma_f16 v16, v17, s4, v16
	v_add_f16_e32 v57, v15, v47
	v_add_f16_e32 v15, v43, v45
	;; [unrolled: 1-line block ×3, first 2 shown]
	v_fma_f16 v42, v37, s2, v16
	v_fma_f16 v15, v15, -0.5, v39
	v_sub_f16_e32 v16, v18, v38
	v_add_f16_e32 v11, v11, v22
	v_fma_f16 v17, v16, s1, v15
	v_sub_f16_e32 v18, v20, v22
	v_sub_f16_e32 v20, v41, v43
	;; [unrolled: 1-line block ×3, first 2 shown]
	v_fma_f16 v15, v16, s3, v15
	v_fma_f16 v17, v18, s0, v17
	v_add_f16_e32 v20, v20, v22
	v_fma_f16 v15, v18, s4, v15
	v_fma_f16 v22, v20, s2, v17
	;; [unrolled: 1-line block ×3, first 2 shown]
	v_add_f16_e32 v15, v41, v47
	v_fma_f16 v15, v15, -0.5, v39
	v_add_f16_e32 v11, v11, v38
	v_fma_f16 v17, v18, s3, v15
	v_sub_f16_e32 v37, v43, v41
	v_sub_f16_e32 v38, v45, v47
	v_fma_f16 v15, v18, s1, v15
	v_add_f16_e32 v37, v37, v38
	v_fma_f16 v15, v16, s4, v15
	v_fma_f16 v41, v37, s2, v15
	v_mul_f16_e32 v15, 0x38b4, v22
	v_fma_f16 v17, v16, s0, v17
	v_fma_f16 v43, v19, s5, v15
	v_mul_f16_e32 v19, 0xb8b4, v19
	;; [unrolled: 3-line block ×3, first 2 shown]
	v_mul_f16_e32 v16, 0x3b9c, v39
	v_mul_f16_e32 v17, 0x34f2, v21
	;; [unrolled: 1-line block ×3, first 2 shown]
	v_fma_f16 v60, v39, s2, v19
	v_mul_f16_e32 v19, 0x34f2, v41
	v_add_f16_e32 v37, v48, v11
	v_add_f16_e32 v15, v54, v43
	v_fma_f16 v45, v42, s2, v16
	v_fma_f16 v47, v41, s3, -v17
	v_fma_f16 v58, v20, s4, -v18
	v_add_f16_e32 v38, v51, v57
	v_add_f16_e32 v40, v53, v59
	v_fma_f16 v61, v21, s1, -v19
	v_mul_f16_e32 v19, 0x3a79, v20
	v_add_f16_e32 v16, v52, v45
	v_add_f16_e32 v17, v50, v47
	;; [unrolled: 1-line block ×5, first 2 shown]
	v_fma_f16 v62, v44, s0, -v19
	v_sub_f16_e32 v19, v48, v11
	v_sub_f16_e32 v11, v49, v58
	v_pack_b32_f16 v48, v37, v38
	v_pack_b32_f16 v49, v15, v40
	v_add_f16_e32 v39, v55, v62
	v_sub_f16_e32 v44, v51, v57
	ds_write2_b32 v26, v48, v49 offset1:16
	v_pack_b32_f16 v48, v16, v42
	v_pack_b32_f16 v49, v17, v41
	v_sub_f16_e32 v20, v54, v43
	v_sub_f16_e32 v21, v52, v45
	;; [unrolled: 1-line block ×4, first 2 shown]
	ds_write2_b32 v24, v48, v49 offset0:32 offset1:48
	v_pack_b32_f16 v48, v18, v39
	v_pack_b32_f16 v49, v19, v44
	v_sub_f16_e32 v22, v50, v47
	v_sub_f16_e32 v46, v56, v61
	v_sub_f16_e32 v47, v55, v62
	ds_write2_b32 v24, v48, v49 offset0:64 offset1:80
	v_pack_b32_f16 v48, v20, v45
	v_pack_b32_f16 v49, v21, v43
	ds_write2_b32 v24, v48, v49 offset0:96 offset1:112
	v_pack_b32_f16 v48, v22, v46
	v_pack_b32_f16 v49, v11, v47
	ds_write2_b32 v24, v48, v49 offset0:128 offset1:144
	s_waitcnt lgkmcnt(0)
	s_barrier
	s_and_saveexec_b64 s[0:1], vcc
	s_cbranch_execz .LBB0_9
; %bb.8:
	global_load_dword v50, v23, s[6:7] offset:640
	ds_read_b32 v48, v26
	s_add_u32 s2, s6, 0x280
	s_addc_u32 s3, s7, 0
	s_waitcnt lgkmcnt(0)
	v_lshrrev_b32_e32 v49, 16, v48
	s_waitcnt vmcnt(0)
	v_mul_f16_sdwa v51, v49, v50 dst_sel:DWORD dst_unused:UNUSED_PAD src0_sel:DWORD src1_sel:WORD_1
	v_fma_f16 v51, v48, v50, -v51
	v_mul_f16_sdwa v48, v48, v50 dst_sel:DWORD dst_unused:UNUSED_PAD src0_sel:DWORD src1_sel:WORD_1
	v_fma_f16 v48, v49, v50, v48
	v_pack_b32_f16 v48, v51, v48
	global_load_dword v51, v23, s[2:3] offset:40
	ds_write_b32 v26, v48
	ds_read2_b32 v[48:49], v24 offset0:10 offset1:20
	s_waitcnt lgkmcnt(0)
	v_lshrrev_b32_e32 v50, 16, v48
	s_waitcnt vmcnt(0)
	v_mul_f16_sdwa v52, v50, v51 dst_sel:DWORD dst_unused:UNUSED_PAD src0_sel:DWORD src1_sel:WORD_1
	v_fma_f16 v52, v48, v51, -v52
	v_mul_f16_sdwa v48, v48, v51 dst_sel:DWORD dst_unused:UNUSED_PAD src0_sel:DWORD src1_sel:WORD_1
	v_fma_f16 v48, v50, v51, v48
	global_load_dword v51, v23, s[2:3] offset:80
	v_lshrrev_b32_e32 v50, 16, v49
	v_pack_b32_f16 v48, v52, v48
	s_waitcnt vmcnt(0)
	v_mul_f16_sdwa v52, v50, v51 dst_sel:DWORD dst_unused:UNUSED_PAD src0_sel:DWORD src1_sel:WORD_1
	v_fma_f16 v52, v49, v51, -v52
	v_mul_f16_sdwa v49, v49, v51 dst_sel:DWORD dst_unused:UNUSED_PAD src0_sel:DWORD src1_sel:WORD_1
	v_fma_f16 v49, v50, v51, v49
	global_load_dword v51, v23, s[2:3] offset:120
	v_pack_b32_f16 v49, v52, v49
	ds_write2_b32 v24, v48, v49 offset0:10 offset1:20
	ds_read2_b32 v[48:49], v24 offset0:30 offset1:40
	s_waitcnt lgkmcnt(0)
	v_lshrrev_b32_e32 v50, 16, v48
	s_waitcnt vmcnt(0)
	v_mul_f16_sdwa v52, v50, v51 dst_sel:DWORD dst_unused:UNUSED_PAD src0_sel:DWORD src1_sel:WORD_1
	v_fma_f16 v52, v48, v51, -v52
	v_mul_f16_sdwa v48, v48, v51 dst_sel:DWORD dst_unused:UNUSED_PAD src0_sel:DWORD src1_sel:WORD_1
	v_fma_f16 v48, v50, v51, v48
	global_load_dword v51, v23, s[2:3] offset:160
	v_lshrrev_b32_e32 v50, 16, v49
	v_pack_b32_f16 v48, v52, v48
	s_waitcnt vmcnt(0)
	v_mul_f16_sdwa v52, v50, v51 dst_sel:DWORD dst_unused:UNUSED_PAD src0_sel:DWORD src1_sel:WORD_1
	v_fma_f16 v52, v49, v51, -v52
	v_mul_f16_sdwa v49, v49, v51 dst_sel:DWORD dst_unused:UNUSED_PAD src0_sel:DWORD src1_sel:WORD_1
	v_fma_f16 v49, v50, v51, v49
	global_load_dword v51, v23, s[2:3] offset:200
	v_pack_b32_f16 v49, v52, v49
	ds_write2_b32 v24, v48, v49 offset0:30 offset1:40
	;; [unrolled: 19-line block ×7, first 2 shown]
	ds_read_b32 v48, v24 offset:600
	s_waitcnt lgkmcnt(0)
	v_lshrrev_b32_e32 v49, 16, v48
	s_waitcnt vmcnt(0)
	v_mul_f16_sdwa v51, v49, v50 dst_sel:DWORD dst_unused:UNUSED_PAD src0_sel:DWORD src1_sel:WORD_1
	v_fma_f16 v51, v48, v50, -v51
	v_mul_f16_sdwa v48, v48, v50 dst_sel:DWORD dst_unused:UNUSED_PAD src0_sel:DWORD src1_sel:WORD_1
	v_fma_f16 v48, v49, v50, v48
	v_pack_b32_f16 v48, v51, v48
	ds_write_b32 v24, v48 offset:600
.LBB0_9:
	s_or_b64 exec, exec, s[0:1]
	v_lshrrev_b32_e32 v36, 16, v36
	s_waitcnt lgkmcnt(0)
	s_barrier
	s_and_saveexec_b64 s[0:1], vcc
	s_cbranch_execz .LBB0_11
; %bb.10:
	ds_read_b32 v37, v26
	ds_read2_b32 v[15:16], v24 offset0:10 offset1:20
	ds_read2_b32 v[17:18], v24 offset0:30 offset1:40
	ds_read_b32 v30, v24 offset:600
	ds_read2_b32 v[19:20], v24 offset0:50 offset1:60
	ds_read2_b32 v[21:22], v24 offset0:70 offset1:80
	;; [unrolled: 1-line block ×5, first 2 shown]
	s_waitcnt lgkmcnt(8)
	v_lshrrev_b32_e32 v38, 16, v37
	s_waitcnt lgkmcnt(7)
	v_lshrrev_b32_e32 v40, 16, v15
	v_lshrrev_b32_e32 v42, 16, v16
	s_waitcnt lgkmcnt(6)
	v_lshrrev_b32_e32 v41, 16, v17
	;; [unrolled: 3-line block ×7, first 2 shown]
	v_lshrrev_b32_e32 v35, 16, v14
	v_lshrrev_b32_e32 v34, 16, v30
.LBB0_11:
	s_or_b64 exec, exec, s[0:1]
	s_barrier
	s_and_saveexec_b64 s[0:1], vcc
	s_cbranch_execz .LBB0_13
; %bb.12:
	v_sub_f16_e32 v33, v42, v33
	v_sub_f16_e32 v14, v20, v14
	;; [unrolled: 1-line block ×17, first 2 shown]
	v_add_f16_e32 v49, v35, v12
	v_add_f16_e32 v50, v36, v22
	v_sub_f16_e32 v53, v47, v13
	v_add_f16_e32 v55, v34, v9
	v_add_f16_e32 v56, v31, v11
	v_sub_f16_e32 v60, v46, v10
	v_fma_f16 v42, v42, 2.0, -v33
	v_fma_f16 v35, v45, 2.0, -v35
	;; [unrolled: 1-line block ×16, first 2 shown]
	v_sub_f16_e32 v35, v42, v35
	v_sub_f16_e32 v10, v37, v10
	;; [unrolled: 1-line block ×8, first 2 shown]
	s_movk_i32 s2, 0x39a8
	v_sub_f16_e32 v52, v32, v30
	v_add_f16_e32 v18, v35, v10
	v_sub_f16_e32 v30, v31, v21
	v_add_f16_e32 v19, v34, v13
	v_sub_f16_e32 v20, v36, v14
	v_fma_f16 v51, v49, s2, v50
	s_mov_b32 s3, 0xb9a8
	v_fma_f16 v43, v19, s2, v18
	v_fma_f16 v39, v30, s2, v20
	v_fma_f16 v22, v22, 2.0, -v50
	v_fma_f16 v12, v12, 2.0, -v49
	v_fma_f16 v51, v48, s2, v51
	v_fma_f16 v61, v48, s2, v60
	;; [unrolled: 1-line block ×4, first 2 shown]
	v_fma_f16 v33, v33, 2.0, -v48
	v_fma_f16 v48, v12, s3, v22
	v_fma_f16 v47, v47, 2.0, -v53
	v_fma_f16 v32, v32, 2.0, -v52
	;; [unrolled: 1-line block ×7, first 2 shown]
	v_fma_f16 v61, v49, s3, v61
	v_fma_f16 v44, v18, 2.0, -v43
	v_fma_f16 v45, v20, 2.0, -v39
	v_fma_f16 v48, v33, s2, v48
	v_fma_f16 v49, v32, s3, v47
	v_fma_f16 v9, v9, 2.0, -v55
	v_fma_f16 v11, v11, 2.0, -v56
	v_fma_f16 v33, v33, s3, v46
	v_fma_f16 v18, v31, 2.0, -v30
	v_fma_f16 v19, v13, s3, v10
	v_fma_f16 v20, v36, 2.0, -v20
	s_movk_i32 s5, 0x361f
	v_fma_f16 v49, v9, s3, v49
	v_fma_f16 v9, v9, s3, v11
	;; [unrolled: 1-line block ×7, first 2 shown]
	s_mov_b32 s15, 0xbb64
	v_fma_f16 v13, v13, s3, v18
	v_fma_f16 v57, v55, s2, v56
	;; [unrolled: 1-line block ×4, first 2 shown]
	v_fma_f16 v18, v20, 2.0, -v13
	v_fma_f16 v20, v22, 2.0, -v48
	;; [unrolled: 1-line block ×3, first 2 shown]
	v_fma_f16 v54, v52, s2, v53
	v_fma_f16 v57, v52, s2, v57
	s_movk_i32 s4, 0x3b64
	v_fma_f16 v22, v47, 2.0, -v49
	v_fma_f16 v11, v9, s15, v20
	v_fma_f16 v54, v55, s3, v54
	;; [unrolled: 1-line block ×4, first 2 shown]
	v_fma_f16 v11, v46, 2.0, -v12
	v_fma_f16 v58, v54, s5, v58
	s_mov_b32 s14, 0xb61f
	v_fma_f16 v55, v12, 2.0, -v33
	v_fma_f16 v14, v16, 2.0, -v14
	;; [unrolled: 1-line block ×5, first 2 shown]
	v_fma_f16 v12, v22, s15, v11
	v_fma_f16 v59, v51, 2.0, -v58
	v_sub_f16_e32 v14, v37, v14
	v_sub_f16_e32 v34, v16, v34
	v_fma_f16 v38, v38, 2.0, -v36
	v_fma_f16 v35, v42, 2.0, -v35
	v_sub_f16_e32 v17, v15, v17
	v_fma_f16 v50, v50, 2.0, -v51
	v_fma_f16 v51, v53, 2.0, -v54
	;; [unrolled: 1-line block ×3, first 2 shown]
	v_fma_f16 v22, v9, s14, v12
	v_fma_f16 v62, v54, s4, v61
	v_add_f16_e32 v40, v34, v14
	v_sub_f16_e32 v35, v38, v35
	v_fma_f16 v54, v53, s14, v50
	v_fma_f16 v56, v60, 2.0, -v61
	v_fma_f16 v31, v11, 2.0, -v22
	;; [unrolled: 1-line block ×5, first 2 shown]
	v_fma_f16 v54, v51, s4, v54
	v_fma_f16 v51, v51, s14, v56
	v_sub_f16_e32 v14, v9, v11
	v_fma_f16 v11, v38, 2.0, -v35
	v_fma_f16 v12, v16, 2.0, -v34
	v_fma_f16 v51, v53, s15, v51
	v_sub_f16_e32 v15, v11, v12
	v_fma_f16 v62, v57, s14, v62
	v_fma_f16 v32, v49, s4, v32
	v_sub_f16_e32 v21, v35, v17
	v_fma_f16 v50, v50, 2.0, -v54
	v_fma_f16 v53, v56, 2.0, -v51
	;; [unrolled: 1-line block ×9, first 2 shown]
	v_add_lshl_u32 v17, v27, v28, 2
	v_pack_b32_f16 v12, v50, v53
	v_pack_b32_f16 v11, v10, v18
	;; [unrolled: 1-line block ×4, first 2 shown]
	ds_write_b128 v17, v[9:12]
	v_pack_b32_f16 v12, v59, v63
	v_pack_b32_f16 v11, v44, v45
	v_pack_b32_f16 v9, v41, v42
	v_pack_b32_f16 v10, v52, v55
	ds_write_b128 v17, v[9:12] offset:16
	v_pack_b32_f16 v12, v54, v51
	v_pack_b32_f16 v11, v19, v13
	v_pack_b32_f16 v9, v14, v15
	v_pack_b32_f16 v10, v30, v22
	ds_write_b128 v17, v[9:12] offset:32
	;; [unrolled: 5-line block ×3, first 2 shown]
.LBB0_13:
	s_or_b64 exec, exec, s[0:1]
	s_waitcnt lgkmcnt(0)
	s_barrier
	ds_read2_b32 v[9:10], v26 offset1:16
	ds_read2_b32 v[11:12], v26 offset0:32 offset1:48
	ds_read2_b32 v[13:14], v26 offset0:64 offset1:80
	;; [unrolled: 1-line block ×4, first 2 shown]
	s_waitcnt lgkmcnt(4)
	v_lshrrev_b32_e32 v20, 16, v10
	v_mul_f16_sdwa v34, v0, v20 dst_sel:DWORD dst_unused:UNUSED_PAD src0_sel:WORD_1 src1_sel:DWORD
	s_waitcnt lgkmcnt(3)
	v_lshrrev_b32_e32 v21, 16, v11
	v_fma_f16 v34, v0, v10, v34
	v_mul_f16_sdwa v10, v0, v10 dst_sel:DWORD dst_unused:UNUSED_PAD src0_sel:WORD_1 src1_sel:DWORD
	v_fma_f16 v0, v0, v20, -v10
	v_mul_f16_sdwa v10, v1, v21 dst_sel:DWORD dst_unused:UNUSED_PAD src0_sel:WORD_1 src1_sel:DWORD
	v_lshrrev_b32_e32 v22, 16, v12
	v_fma_f16 v10, v1, v11, v10
	v_mul_f16_sdwa v11, v1, v11 dst_sel:DWORD dst_unused:UNUSED_PAD src0_sel:WORD_1 src1_sel:DWORD
	v_fma_f16 v1, v1, v21, -v11
	v_mul_f16_sdwa v11, v2, v22 dst_sel:DWORD dst_unused:UNUSED_PAD src0_sel:WORD_1 src1_sel:DWORD
	s_waitcnt lgkmcnt(2)
	v_lshrrev_b32_e32 v27, 16, v13
	v_fma_f16 v11, v2, v12, v11
	v_mul_f16_sdwa v12, v2, v12 dst_sel:DWORD dst_unused:UNUSED_PAD src0_sel:WORD_1 src1_sel:DWORD
	v_fma_f16 v2, v2, v22, -v12
	v_mul_f16_sdwa v12, v3, v27 dst_sel:DWORD dst_unused:UNUSED_PAD src0_sel:WORD_1 src1_sel:DWORD
	v_lshrrev_b32_e32 v28, 16, v14
	v_fma_f16 v12, v3, v13, v12
	v_mul_f16_sdwa v13, v3, v13 dst_sel:DWORD dst_unused:UNUSED_PAD src0_sel:WORD_1 src1_sel:DWORD
	v_fma_f16 v3, v3, v27, -v13
	v_mul_f16_sdwa v13, v4, v28 dst_sel:DWORD dst_unused:UNUSED_PAD src0_sel:WORD_1 src1_sel:DWORD
	s_waitcnt lgkmcnt(1)
	v_lshrrev_b32_e32 v30, 16, v15
	v_fma_f16 v13, v4, v14, v13
	v_mul_f16_sdwa v14, v4, v14 dst_sel:DWORD dst_unused:UNUSED_PAD src0_sel:WORD_1 src1_sel:DWORD
	v_fma_f16 v4, v4, v28, -v14
	v_mul_f16_sdwa v14, v5, v30 dst_sel:DWORD dst_unused:UNUSED_PAD src0_sel:WORD_1 src1_sel:DWORD
	v_lshrrev_b32_e32 v31, 16, v16
	v_fma_f16 v14, v5, v15, v14
	v_mul_f16_sdwa v15, v5, v15 dst_sel:DWORD dst_unused:UNUSED_PAD src0_sel:WORD_1 src1_sel:DWORD
	v_fma_f16 v5, v5, v30, -v15
	v_mul_f16_sdwa v15, v6, v31 dst_sel:DWORD dst_unused:UNUSED_PAD src0_sel:WORD_1 src1_sel:DWORD
	s_waitcnt lgkmcnt(0)
	v_lshrrev_b32_e32 v32, 16, v17
	v_fma_f16 v15, v6, v16, v15
	v_mul_f16_sdwa v16, v6, v16 dst_sel:DWORD dst_unused:UNUSED_PAD src0_sel:WORD_1 src1_sel:DWORD
	v_fma_f16 v6, v6, v31, -v16
	v_mul_f16_sdwa v16, v7, v32 dst_sel:DWORD dst_unused:UNUSED_PAD src0_sel:WORD_1 src1_sel:DWORD
	v_lshrrev_b32_e32 v33, 16, v18
	v_fma_f16 v16, v7, v17, v16
	v_mul_f16_sdwa v17, v7, v17 dst_sel:DWORD dst_unused:UNUSED_PAD src0_sel:WORD_1 src1_sel:DWORD
	v_fma_f16 v7, v7, v32, -v17
	v_mul_f16_sdwa v17, v29, v33 dst_sel:DWORD dst_unused:UNUSED_PAD src0_sel:WORD_1 src1_sel:DWORD
	v_add_f16_e32 v21, v12, v14
	v_fma_f16 v17, v29, v18, v17
	v_mul_f16_sdwa v18, v29, v18 dst_sel:DWORD dst_unused:UNUSED_PAD src0_sel:WORD_1 src1_sel:DWORD
	v_fma_f16 v21, v21, -0.5, v9
	v_sub_f16_e32 v22, v1, v7
	s_mov_b32 s0, 0xbb9c
	s_movk_i32 s3, 0x3b9c
	v_fma_f16 v18, v29, v33, -v18
	v_fma_f16 v27, v22, s0, v21
	v_sub_f16_e32 v28, v3, v5
	s_mov_b32 s1, 0xb8b4
	v_sub_f16_e32 v29, v10, v12
	v_sub_f16_e32 v30, v16, v14
	v_fma_f16 v21, v22, s3, v21
	s_movk_i32 s4, 0x38b4
	v_fma_f16 v27, v28, s1, v27
	v_add_f16_e32 v29, v29, v30
	s_movk_i32 s2, 0x34f2
	v_fma_f16 v21, v28, s4, v21
	v_fma_f16 v27, v29, s2, v27
	;; [unrolled: 1-line block ×3, first 2 shown]
	v_add_f16_e32 v29, v10, v16
	v_lshrrev_b32_e32 v19, 16, v9
	v_add_f16_e32 v20, v9, v10
	v_fma_f16 v9, v29, -0.5, v9
	v_add_f16_e32 v20, v20, v12
	v_fma_f16 v29, v28, s3, v9
	v_fma_f16 v9, v28, s0, v9
	v_add_f16_e32 v28, v3, v5
	v_add_f16_e32 v20, v20, v14
	v_sub_f16_e32 v30, v12, v10
	v_sub_f16_e32 v31, v14, v16
	v_fma_f16 v28, v28, -0.5, v19
	v_sub_f16_e32 v10, v10, v16
	v_add_f16_e32 v20, v20, v16
	v_fma_f16 v29, v22, s1, v29
	v_add_f16_e32 v30, v30, v31
	v_fma_f16 v9, v22, s4, v9
	v_fma_f16 v16, v10, s3, v28
	v_sub_f16_e32 v12, v12, v14
	v_fma_f16 v29, v30, s2, v29
	v_fma_f16 v9, v30, s2, v9
	v_fma_f16 v14, v12, s4, v16
	v_sub_f16_e32 v16, v1, v3
	v_sub_f16_e32 v30, v7, v5
	v_fma_f16 v28, v10, s0, v28
	v_add_f16_e32 v22, v19, v1
	v_add_f16_e32 v16, v16, v30
	v_fma_f16 v28, v12, s1, v28
	v_add_f16_e32 v22, v22, v3
	v_fma_f16 v14, v16, s2, v14
	v_fma_f16 v16, v16, s2, v28
	v_add_f16_e32 v28, v1, v7
	v_add_f16_e32 v22, v22, v5
	v_fma_f16 v19, v28, -0.5, v19
	v_add_f16_e32 v22, v22, v7
	v_fma_f16 v28, v12, s0, v19
	v_sub_f16_e32 v1, v3, v1
	v_sub_f16_e32 v3, v5, v7
	v_fma_f16 v5, v12, s3, v19
	v_add_f16_e32 v7, v13, v15
	v_fma_f16 v28, v10, s4, v28
	v_add_f16_e32 v1, v1, v3
	v_fma_f16 v5, v10, s1, v5
	v_fma_f16 v7, v7, -0.5, v34
	v_sub_f16_e32 v10, v2, v18
	v_fma_f16 v3, v1, s2, v28
	v_fma_f16 v12, v10, s0, v7
	v_sub_f16_e32 v19, v4, v6
	v_sub_f16_e32 v28, v11, v13
	;; [unrolled: 1-line block ×3, first 2 shown]
	v_fma_f16 v7, v10, s3, v7
	v_fma_f16 v12, v19, s1, v12
	v_add_f16_e32 v28, v28, v30
	v_fma_f16 v7, v19, s4, v7
	v_fma_f16 v12, v28, s2, v12
	;; [unrolled: 1-line block ×3, first 2 shown]
	v_add_f16_e32 v28, v11, v17
	v_fma_f16 v1, v1, s2, v5
	v_add_f16_e32 v5, v34, v11
	v_fma_f16 v28, v28, -0.5, v34
	v_add_f16_e32 v5, v5, v13
	v_fma_f16 v30, v19, s3, v28
	v_fma_f16 v19, v19, s0, v28
	v_add_f16_e32 v28, v4, v6
	v_add_f16_e32 v5, v5, v15
	v_sub_f16_e32 v31, v13, v11
	v_sub_f16_e32 v32, v15, v17
	v_fma_f16 v28, v28, -0.5, v0
	v_sub_f16_e32 v11, v11, v17
	v_add_f16_e32 v5, v5, v17
	v_fma_f16 v30, v10, s1, v30
	v_add_f16_e32 v31, v31, v32
	v_fma_f16 v10, v10, s4, v19
	v_fma_f16 v17, v11, s3, v28
	v_sub_f16_e32 v13, v13, v15
	v_fma_f16 v30, v31, s2, v30
	v_fma_f16 v10, v31, s2, v10
	;; [unrolled: 1-line block ×3, first 2 shown]
	v_sub_f16_e32 v17, v2, v4
	v_sub_f16_e32 v31, v18, v6
	v_fma_f16 v28, v11, s0, v28
	v_add_f16_e32 v17, v17, v31
	v_fma_f16 v28, v13, s1, v28
	v_fma_f16 v15, v17, s2, v15
	;; [unrolled: 1-line block ×3, first 2 shown]
	v_add_f16_e32 v28, v2, v18
	v_add_f16_e32 v19, v0, v2
	v_fma_f16 v0, v28, -0.5, v0
	v_add_f16_e32 v19, v19, v4
	v_fma_f16 v28, v13, s0, v0
	v_sub_f16_e32 v2, v4, v2
	v_sub_f16_e32 v4, v6, v18
	v_fma_f16 v0, v13, s3, v0
	v_fma_f16 v28, v11, s4, v28
	v_add_f16_e32 v2, v2, v4
	v_fma_f16 v0, v11, s1, v0
	v_add_f16_e32 v19, v19, v6
	v_fma_f16 v4, v2, s2, v28
	v_fma_f16 v0, v2, s2, v0
	v_mul_f16_e32 v6, 0xb8b4, v15
	s_movk_i32 s0, 0x3a79
	v_mul_f16_e32 v15, 0x3a79, v15
	v_add_f16_e32 v19, v19, v18
	v_fma_f16 v6, v12, s0, v6
	v_mul_f16_e32 v13, 0xbb9c, v4
	v_mul_f16_e32 v28, 0xbb9c, v0
	s_mov_b32 s0, 0xb4f2
	v_fma_f16 v12, v12, s4, v15
	v_mul_f16_e32 v4, 0x34f2, v4
	v_mul_f16_e32 v0, 0xb4f2, v0
	v_add_f16_e32 v2, v20, v5
	v_add_f16_e32 v11, v27, v6
	v_fma_f16 v13, v30, s2, v13
	v_fma_f16 v28, v10, s0, v28
	v_mul_f16_e32 v32, 0xb8b4, v17
	s_mov_b32 s0, 0xba79
	v_add_f16_e32 v34, v22, v19
	v_add_f16_e32 v15, v14, v12
	v_fma_f16 v4, v30, s3, v4
	v_fma_f16 v0, v10, s3, v0
	v_mul_f16_e32 v17, 0xba79, v17
	v_add_f16_e32 v18, v29, v13
	v_add_f16_e32 v31, v9, v28
	v_fma_f16 v32, v7, s0, v32
	v_add_f16_e32 v30, v3, v4
	v_add_f16_e32 v10, v1, v0
	v_fma_f16 v7, v7, s4, v17
	v_sub_f16_e32 v3, v3, v4
	v_pack_b32_f16 v2, v2, v34
	v_pack_b32_f16 v4, v11, v15
	v_add_f16_e32 v33, v21, v32
	v_add_f16_e32 v17, v16, v7
	v_sub_f16_e32 v5, v20, v5
	v_sub_f16_e32 v19, v22, v19
	ds_write2_b32 v26, v2, v4 offset1:16
	v_pack_b32_f16 v2, v18, v30
	v_pack_b32_f16 v4, v31, v10
	v_sub_f16_e32 v6, v27, v6
	v_sub_f16_e32 v13, v29, v13
	;; [unrolled: 1-line block ×7, first 2 shown]
	ds_write2_b32 v24, v2, v4 offset0:32 offset1:48
	v_pack_b32_f16 v2, v33, v17
	v_pack_b32_f16 v4, v5, v19
	ds_write2_b32 v24, v2, v4 offset0:64 offset1:80
	v_pack_b32_f16 v2, v6, v12
	v_pack_b32_f16 v3, v13, v3
	;; [unrolled: 1-line block ×4, first 2 shown]
	ds_write2_b32 v24, v2, v3 offset0:96 offset1:112
	ds_write2_b32 v24, v0, v1 offset0:128 offset1:144
	s_waitcnt lgkmcnt(0)
	s_barrier
	s_and_b64 exec, exec, vcc
	s_cbranch_execz .LBB0_15
; %bb.14:
	global_load_dword v9, v23, s[6:7]
	global_load_dword v7, v23, s[6:7] offset:40
	v_mad_u64_u32 v[2:3], s[0:1], s10, v8, 0
	v_mad_u64_u32 v[4:5], s[0:1], s8, v25, 0
	ds_read2_b32 v[0:1], v24 offset0:10 offset1:20
	global_load_dword v10, v23, s[6:7] offset:80
	global_load_dword v11, v23, s[6:7] offset:120
	;; [unrolled: 1-line block ×6, first 2 shown]
	ds_read_b32 v17, v26
	ds_read_b32 v16, v24 offset:600
	v_mad_u64_u32 v[18:19], s[0:1], s11, v8, v[3:4]
	v_mov_b32_e32 v6, 0x7c00
	s_waitcnt lgkmcnt(1)
	v_lshrrev_b32_e32 v3, 16, v17
	v_mad_u64_u32 v[19:20], s[0:1], s9, v25, v[5:6]
	s_mov_b32 s14, 0x9999999a
	s_mov_b32 s15, 0x3f799999
	s_movk_i32 s18, 0x1ff
	s_movk_i32 s17, 0xffe
	v_lshrrev_b32_e32 v22, 16, v0
	v_mov_b32_e32 v5, v19
	s_movk_i32 s16, 0x40f
	s_mov_b32 s10, 0x8000
	s_waitcnt vmcnt(7)
	v_mul_f16_sdwa v8, v3, v9 dst_sel:DWORD dst_unused:UNUSED_PAD src0_sel:DWORD src1_sel:WORD_1
	v_fma_f16 v8, v17, v9, v8
	v_mul_f16_sdwa v17, v17, v9 dst_sel:DWORD dst_unused:UNUSED_PAD src0_sel:DWORD src1_sel:WORD_1
	v_cvt_f32_f16_e32 v8, v8
	v_fma_f16 v3, v9, v3, -v17
	v_cvt_f32_f16_e32 v3, v3
	s_waitcnt vmcnt(6)
	v_mul_f16_sdwa v19, v22, v7 dst_sel:DWORD dst_unused:UNUSED_PAD src0_sel:DWORD src1_sel:WORD_1
	v_cvt_f64_f32_e32 v[8:9], v8
	v_fma_f16 v19, v0, v7, v19
	v_cvt_f64_f32_e32 v[20:21], v3
	v_mov_b32_e32 v3, v18
	v_mul_f64 v[8:9], v[8:9], s[14:15]
	v_cvt_f32_f16_e32 v19, v19
	v_mul_f64 v[17:18], v[20:21], s[14:15]
	v_lshlrev_b64 v[2:3], 2, v[2:3]
	v_mul_f16_sdwa v0, v0, v7 dst_sel:DWORD dst_unused:UNUSED_PAD src0_sel:DWORD src1_sel:WORD_1
	v_fma_f16 v0, v7, v22, -v0
	v_cvt_f32_f16_e32 v0, v0
	v_and_or_b32 v8, v9, s18, v8
	v_cmp_ne_u32_e32 vcc, 0, v8
	v_and_or_b32 v17, v18, s18, v17
	v_lshrrev_b32_e32 v20, 8, v9
	v_bfe_u32 v21, v9, 20, 11
	v_cndmask_b32_e64 v8, 0, 1, vcc
	v_cmp_ne_u32_e32 vcc, 0, v17
	v_lshrrev_b32_e32 v25, 8, v18
	v_bfe_u32 v26, v18, 20, 11
	v_sub_u32_e32 v27, 0x3f1, v21
	v_cndmask_b32_e64 v17, 0, 1, vcc
	v_and_or_b32 v8, v20, s17, v8
	v_sub_u32_e32 v28, 0x3f1, v26
	v_med3_i32 v20, v27, 0, 13
	v_and_or_b32 v17, v25, s17, v17
	v_or_b32_e32 v27, 0x1000, v8
	v_add_u32_e32 v21, 0xfffffc10, v21
	v_med3_i32 v25, v28, 0, 13
	v_cmp_ne_u32_e32 vcc, 0, v8
	v_or_b32_e32 v29, 0x1000, v17
	v_lshrrev_b32_e32 v31, v20, v27
	v_add_u32_e32 v26, 0xfffffc10, v26
	v_lshl_or_b32 v28, v21, 12, v8
	v_cndmask_b32_e64 v8, 0, 1, vcc
	v_cmp_ne_u32_e32 vcc, 0, v17
	v_lshrrev_b32_e32 v32, v25, v29
	v_lshlrev_b32_e32 v20, v20, v31
	v_lshl_or_b32 v30, v26, 12, v17
	v_cndmask_b32_e64 v17, 0, 1, vcc
	v_lshlrev_b32_e32 v25, v25, v32
	v_cmp_ne_u32_e32 vcc, v20, v27
	v_cndmask_b32_e64 v20, 0, 1, vcc
	v_cmp_ne_u32_e32 vcc, v25, v29
	v_cndmask_b32_e64 v25, 0, 1, vcc
	v_or_b32_e32 v20, v31, v20
	v_cmp_gt_i32_e32 vcc, 1, v21
	v_cndmask_b32_e32 v20, v28, v20, vcc
	v_or_b32_e32 v25, v32, v25
	v_cmp_gt_i32_e32 vcc, 1, v26
	v_and_b32_e32 v27, 7, v20
	v_cndmask_b32_e32 v25, v30, v25, vcc
	v_cmp_lt_i32_e32 vcc, 5, v27
	v_cmp_eq_u32_e64 s[0:1], 3, v27
	v_lshrrev_b32_e32 v20, 2, v20
	v_and_b32_e32 v28, 7, v25
	s_or_b64 vcc, s[0:1], vcc
	v_cmp_lt_i32_e64 s[2:3], 5, v28
	v_cmp_eq_u32_e64 s[4:5], 3, v28
	v_addc_co_u32_e32 v20, vcc, 0, v20, vcc
	v_lshrrev_b32_e32 v25, 2, v25
	s_or_b64 vcc, s[4:5], s[2:3]
	v_addc_co_u32_e32 v25, vcc, 0, v25, vcc
	v_cmp_gt_i32_e32 vcc, 31, v21
	v_cndmask_b32_e32 v20, v6, v20, vcc
	v_cmp_gt_i32_e32 vcc, 31, v26
	v_lshl_or_b32 v8, v8, 9, v6
	v_cndmask_b32_e32 v25, v6, v25, vcc
	v_cmp_eq_u32_e32 vcc, s16, v21
	v_lshrrev_b32_e32 v9, 16, v9
	v_lshl_or_b32 v17, v17, 9, v6
	v_cndmask_b32_e32 v8, v20, v8, vcc
	v_cmp_eq_u32_e32 vcc, s16, v26
	v_lshrrev_b32_e32 v18, 16, v18
	v_cndmask_b32_e32 v17, v25, v17, vcc
	v_and_or_b32 v8, v9, s10, v8
	v_and_or_b32 v17, v18, s10, v17
	v_and_b32_e32 v18, 0xffff, v8
	v_cvt_f64_f32_e32 v[8:9], v19
	v_lshl_or_b32 v17, v17, 16, v18
	v_mov_b32_e32 v18, s13
	v_add_co_u32_e32 v19, vcc, s12, v2
	v_mul_f64 v[8:9], v[8:9], s[14:15]
	v_addc_co_u32_e32 v18, vcc, v18, v3, vcc
	v_lshlrev_b64 v[2:3], 2, v[4:5]
	s_mul_hi_u32 s2, s8, 40
	v_add_co_u32_e32 v2, vcc, v19, v2
	v_addc_co_u32_e32 v3, vcc, v18, v3, vcc
	v_and_or_b32 v4, v9, s18, v8
	v_cmp_ne_u32_e32 vcc, 0, v4
	v_cndmask_b32_e64 v4, 0, 1, vcc
	v_lshrrev_b32_e32 v5, 8, v9
	v_and_or_b32 v8, v5, s17, v4
	v_bfe_u32 v5, v9, 20, 11
	global_store_dword v[2:3], v17, off
	v_sub_u32_e32 v17, 0x3f1, v5
	v_or_b32_e32 v4, 0x1000, v8
	v_med3_i32 v17, v17, 0, 13
	v_lshrrev_b32_e32 v18, v17, v4
	v_lshlrev_b32_e32 v17, v17, v18
	v_cmp_ne_u32_e32 vcc, v17, v4
	v_cndmask_b32_e64 v4, 0, 1, vcc
	v_add_u32_e32 v17, 0xfffffc10, v5
	v_or_b32_e32 v4, v18, v4
	v_lshl_or_b32 v5, v17, 12, v8
	v_cmp_gt_i32_e32 vcc, 1, v17
	v_cndmask_b32_e32 v4, v5, v4, vcc
	v_and_b32_e32 v5, 7, v4
	v_cmp_lt_i32_e32 vcc, 5, v5
	v_cmp_eq_u32_e64 s[0:1], 3, v5
	v_lshrrev_b32_e32 v7, 2, v4
	v_cvt_f64_f32_e32 v[4:5], v0
	s_or_b64 vcc, s[0:1], vcc
	v_addc_co_u32_e32 v0, vcc, 0, v7, vcc
	v_mul_f64 v[4:5], v[4:5], s[14:15]
	v_cmp_gt_i32_e32 vcc, 31, v17
	v_cndmask_b32_e32 v0, v6, v0, vcc
	v_cmp_ne_u32_e32 vcc, 0, v8
	v_cndmask_b32_e64 v7, 0, 1, vcc
	v_lshl_or_b32 v7, v7, 9, v6
	v_cmp_eq_u32_e32 vcc, s16, v17
	v_cndmask_b32_e32 v0, v0, v7, vcc
	v_and_or_b32 v4, v5, s18, v4
	v_lshrrev_b32_e32 v7, 16, v9
	v_cmp_ne_u32_e32 vcc, 0, v4
	v_and_or_b32 v0, v7, s10, v0
	v_cndmask_b32_e64 v4, 0, 1, vcc
	v_lshrrev_b32_e32 v7, 8, v5
	v_bfe_u32 v8, v5, 20, 11
	v_and_or_b32 v4, v7, s17, v4
	v_sub_u32_e32 v9, 0x3f1, v8
	v_or_b32_e32 v7, 0x1000, v4
	v_med3_i32 v9, v9, 0, 13
	v_lshrrev_b32_e32 v17, v9, v7
	v_lshlrev_b32_e32 v9, v9, v17
	v_cmp_ne_u32_e32 vcc, v9, v7
	v_cndmask_b32_e64 v7, 0, 1, vcc
	v_add_u32_e32 v8, 0xfffffc10, v8
	v_or_b32_e32 v7, v17, v7
	v_lshl_or_b32 v9, v8, 12, v4
	v_cmp_gt_i32_e32 vcc, 1, v8
	v_cndmask_b32_e32 v7, v9, v7, vcc
	v_and_b32_e32 v9, 7, v7
	v_cmp_lt_i32_e32 vcc, 5, v9
	v_cmp_eq_u32_e64 s[0:1], 3, v9
	v_lshrrev_b32_e32 v7, 2, v7
	s_or_b64 vcc, s[0:1], vcc
	v_addc_co_u32_e32 v7, vcc, 0, v7, vcc
	v_cmp_gt_i32_e32 vcc, 31, v8
	v_cndmask_b32_e32 v7, v6, v7, vcc
	v_cmp_ne_u32_e32 vcc, 0, v4
	v_cndmask_b32_e64 v4, 0, 1, vcc
	v_lshl_or_b32 v4, v4, 9, v6
	v_cmp_eq_u32_e32 vcc, s16, v8
	v_cndmask_b32_e32 v4, v7, v4, vcc
	v_lshrrev_b32_e32 v7, 16, v1
	s_waitcnt vmcnt(6)
	v_mul_f16_sdwa v8, v7, v10 dst_sel:DWORD dst_unused:UNUSED_PAD src0_sel:DWORD src1_sel:WORD_1
	v_fma_f16 v8, v1, v10, v8
	v_cvt_f32_f16_e32 v8, v8
	v_lshrrev_b32_e32 v5, 16, v5
	v_and_or_b32 v4, v5, s10, v4
	v_and_b32_e32 v0, 0xffff, v0
	v_lshl_or_b32 v0, v4, 16, v0
	v_cvt_f64_f32_e32 v[4:5], v8
	s_mul_i32 s0, s9, 40
	s_add_i32 s2, s2, s0
	s_mul_i32 s3, s8, 40
	v_mul_f64 v[4:5], v[4:5], s[14:15]
	v_mov_b32_e32 v8, s2
	v_add_co_u32_e32 v2, vcc, s3, v2
	v_addc_co_u32_e32 v3, vcc, v3, v8, vcc
	global_store_dword v[2:3], v0, off
	v_mul_f16_sdwa v1, v1, v10 dst_sel:DWORD dst_unused:UNUSED_PAD src0_sel:DWORD src1_sel:WORD_1
	v_and_or_b32 v0, v5, s18, v4
	v_cmp_ne_u32_e32 vcc, 0, v0
	v_cndmask_b32_e64 v0, 0, 1, vcc
	v_lshrrev_b32_e32 v4, 8, v5
	v_bfe_u32 v8, v5, 20, 11
	v_and_or_b32 v4, v4, s17, v0
	v_sub_u32_e32 v9, 0x3f1, v8
	v_or_b32_e32 v0, 0x1000, v4
	v_med3_i32 v9, v9, 0, 13
	v_lshrrev_b32_e32 v17, v9, v0
	v_lshlrev_b32_e32 v9, v9, v17
	v_fma_f16 v1, v10, v7, -v1
	v_cmp_ne_u32_e32 vcc, v9, v0
	v_cvt_f32_f16_e32 v1, v1
	v_cndmask_b32_e64 v0, 0, 1, vcc
	v_add_u32_e32 v8, 0xfffffc10, v8
	v_or_b32_e32 v0, v17, v0
	v_lshl_or_b32 v9, v8, 12, v4
	v_cmp_gt_i32_e32 vcc, 1, v8
	v_cndmask_b32_e32 v0, v9, v0, vcc
	v_and_b32_e32 v9, 7, v0
	v_lshrrev_b32_e32 v7, 2, v0
	v_cvt_f64_f32_e32 v[0:1], v1
	v_cmp_lt_i32_e32 vcc, 5, v9
	v_cmp_eq_u32_e64 s[0:1], 3, v9
	s_or_b64 vcc, s[0:1], vcc
	v_mul_f64 v[0:1], v[0:1], s[14:15]
	v_addc_co_u32_e32 v7, vcc, 0, v7, vcc
	v_cmp_gt_i32_e32 vcc, 31, v8
	v_cndmask_b32_e32 v7, v6, v7, vcc
	v_cmp_ne_u32_e32 vcc, 0, v4
	v_cndmask_b32_e64 v4, 0, 1, vcc
	v_lshl_or_b32 v4, v4, 9, v6
	v_cmp_eq_u32_e32 vcc, s16, v8
	v_and_or_b32 v0, v1, s18, v0
	v_cndmask_b32_e32 v4, v7, v4, vcc
	v_lshrrev_b32_e32 v5, 16, v5
	v_cmp_ne_u32_e32 vcc, 0, v0
	v_and_or_b32 v9, v5, s10, v4
	v_cndmask_b32_e64 v0, 0, 1, vcc
	v_lshrrev_b32_e32 v4, 8, v1
	v_bfe_u32 v5, v1, 20, 11
	v_and_or_b32 v0, v4, s17, v0
	v_sub_u32_e32 v7, 0x3f1, v5
	v_or_b32_e32 v4, 0x1000, v0
	v_med3_i32 v7, v7, 0, 13
	v_lshrrev_b32_e32 v8, v7, v4
	v_lshlrev_b32_e32 v7, v7, v8
	v_cmp_ne_u32_e32 vcc, v7, v4
	v_cndmask_b32_e64 v4, 0, 1, vcc
	v_add_u32_e32 v7, 0xfffffc10, v5
	v_or_b32_e32 v4, v8, v4
	v_lshl_or_b32 v5, v7, 12, v0
	v_cmp_gt_i32_e32 vcc, 1, v7
	v_cndmask_b32_e32 v4, v5, v4, vcc
	v_and_b32_e32 v5, 7, v4
	v_cmp_lt_i32_e32 vcc, 5, v5
	v_cmp_eq_u32_e64 s[0:1], 3, v5
	v_lshrrev_b32_e32 v4, 2, v4
	s_or_b64 vcc, s[0:1], vcc
	v_addc_co_u32_e32 v8, vcc, 0, v4, vcc
	ds_read2_b32 v[4:5], v24 offset0:30 offset1:40
	v_cmp_gt_i32_e32 vcc, 31, v7
	v_cndmask_b32_e32 v8, v6, v8, vcc
	v_cmp_ne_u32_e32 vcc, 0, v0
	v_cndmask_b32_e64 v0, 0, 1, vcc
	s_waitcnt lgkmcnt(0)
	v_lshrrev_b32_e32 v10, 16, v4
	s_waitcnt vmcnt(6)
	v_mul_f16_sdwa v17, v10, v11 dst_sel:DWORD dst_unused:UNUSED_PAD src0_sel:DWORD src1_sel:WORD_1
	v_fma_f16 v17, v4, v11, v17
	v_cvt_f32_f16_e32 v17, v17
	v_lshl_or_b32 v0, v0, 9, v6
	v_cmp_eq_u32_e32 vcc, s16, v7
	v_cndmask_b32_e32 v0, v8, v0, vcc
	v_cvt_f64_f32_e32 v[7:8], v17
	v_lshrrev_b32_e32 v1, 16, v1
	v_and_or_b32 v17, v1, s10, v0
	v_add_co_u32_e32 v2, vcc, s3, v2
	v_mul_f64 v[0:1], v[7:8], s[14:15]
	v_mov_b32_e32 v8, s2
	v_and_b32_e32 v9, 0xffff, v9
	v_addc_co_u32_e32 v3, vcc, v3, v8, vcc
	v_lshl_or_b32 v7, v17, 16, v9
	global_store_dword v[2:3], v7, off
	v_mul_f16_sdwa v4, v4, v11 dst_sel:DWORD dst_unused:UNUSED_PAD src0_sel:DWORD src1_sel:WORD_1
	v_and_or_b32 v0, v1, s18, v0
	v_cmp_ne_u32_e32 vcc, 0, v0
	v_cndmask_b32_e64 v0, 0, 1, vcc
	v_lshrrev_b32_e32 v7, 8, v1
	v_bfe_u32 v8, v1, 20, 11
	v_and_or_b32 v0, v7, s17, v0
	v_sub_u32_e32 v9, 0x3f1, v8
	v_or_b32_e32 v7, 0x1000, v0
	v_med3_i32 v9, v9, 0, 13
	v_lshrrev_b32_e32 v17, v9, v7
	v_lshlrev_b32_e32 v9, v9, v17
	v_cmp_ne_u32_e32 vcc, v9, v7
	v_fma_f16 v4, v11, v10, -v4
	v_cndmask_b32_e64 v7, 0, 1, vcc
	v_add_u32_e32 v9, 0xfffffc10, v8
	v_cvt_f32_f16_e32 v4, v4
	v_or_b32_e32 v7, v17, v7
	v_lshl_or_b32 v8, v9, 12, v0
	v_cmp_gt_i32_e32 vcc, 1, v9
	v_cndmask_b32_e32 v7, v8, v7, vcc
	v_and_b32_e32 v8, 7, v7
	v_cmp_lt_i32_e32 vcc, 5, v8
	v_cmp_eq_u32_e64 s[0:1], 3, v8
	v_lshrrev_b32_e32 v10, 2, v7
	v_cvt_f64_f32_e32 v[7:8], v4
	s_or_b64 vcc, s[0:1], vcc
	v_addc_co_u32_e32 v4, vcc, 0, v10, vcc
	v_mul_f64 v[7:8], v[7:8], s[14:15]
	v_cmp_gt_i32_e32 vcc, 31, v9
	v_cndmask_b32_e32 v4, v6, v4, vcc
	v_cmp_ne_u32_e32 vcc, 0, v0
	v_cndmask_b32_e64 v0, 0, 1, vcc
	v_lshl_or_b32 v0, v0, 9, v6
	v_cmp_eq_u32_e32 vcc, s16, v9
	v_cndmask_b32_e32 v0, v4, v0, vcc
	v_lshrrev_b32_e32 v1, 16, v1
	v_and_or_b32 v4, v1, s10, v0
	v_and_or_b32 v0, v8, s18, v7
	v_cmp_ne_u32_e32 vcc, 0, v0
	v_cndmask_b32_e64 v0, 0, 1, vcc
	v_lshrrev_b32_e32 v1, 8, v8
	v_bfe_u32 v7, v8, 20, 11
	v_and_or_b32 v0, v1, s17, v0
	v_sub_u32_e32 v9, 0x3f1, v7
	v_or_b32_e32 v1, 0x1000, v0
	v_med3_i32 v9, v9, 0, 13
	v_lshrrev_b32_e32 v10, v9, v1
	v_lshlrev_b32_e32 v9, v9, v10
	v_cmp_ne_u32_e32 vcc, v9, v1
	v_cndmask_b32_e64 v1, 0, 1, vcc
	v_add_u32_e32 v7, 0xfffffc10, v7
	v_or_b32_e32 v1, v10, v1
	v_lshl_or_b32 v9, v7, 12, v0
	v_cmp_gt_i32_e32 vcc, 1, v7
	v_cndmask_b32_e32 v1, v9, v1, vcc
	v_and_b32_e32 v9, 7, v1
	v_cmp_lt_i32_e32 vcc, 5, v9
	v_cmp_eq_u32_e64 s[0:1], 3, v9
	v_lshrrev_b32_e32 v9, 16, v5
	v_lshrrev_b32_e32 v1, 2, v1
	s_or_b64 vcc, s[0:1], vcc
	s_waitcnt vmcnt(6)
	v_mul_f16_sdwa v10, v9, v12 dst_sel:DWORD dst_unused:UNUSED_PAD src0_sel:DWORD src1_sel:WORD_1
	v_addc_co_u32_e32 v1, vcc, 0, v1, vcc
	v_fma_f16 v10, v5, v12, v10
	v_cmp_gt_i32_e32 vcc, 31, v7
	v_cvt_f32_f16_e32 v10, v10
	v_cndmask_b32_e32 v1, v6, v1, vcc
	v_cmp_ne_u32_e32 vcc, 0, v0
	v_cndmask_b32_e64 v0, 0, 1, vcc
	v_lshl_or_b32 v0, v0, 9, v6
	v_cmp_eq_u32_e32 vcc, s16, v7
	v_cndmask_b32_e32 v7, v1, v0, vcc
	v_cvt_f64_f32_e32 v[0:1], v10
	v_lshrrev_b32_e32 v8, 16, v8
	v_and_or_b32 v7, v8, s10, v7
	v_and_b32_e32 v4, 0xffff, v4
	v_mul_f64 v[0:1], v[0:1], s[14:15]
	v_lshl_or_b32 v4, v7, 16, v4
	v_mov_b32_e32 v7, s2
	v_add_co_u32_e32 v2, vcc, s3, v2
	v_addc_co_u32_e32 v3, vcc, v3, v7, vcc
	global_store_dword v[2:3], v4, off
	v_and_or_b32 v0, v1, s18, v0
	v_cmp_ne_u32_e32 vcc, 0, v0
	v_cndmask_b32_e64 v0, 0, 1, vcc
	v_lshrrev_b32_e32 v4, 8, v1
	v_bfe_u32 v7, v1, 20, 11
	v_and_or_b32 v0, v4, s17, v0
	v_sub_u32_e32 v8, 0x3f1, v7
	v_or_b32_e32 v4, 0x1000, v0
	v_med3_i32 v8, v8, 0, 13
	v_lshrrev_b32_e32 v10, v8, v4
	v_lshlrev_b32_e32 v8, v8, v10
	v_mul_f16_sdwa v5, v5, v12 dst_sel:DWORD dst_unused:UNUSED_PAD src0_sel:DWORD src1_sel:WORD_1
	v_cmp_ne_u32_e32 vcc, v8, v4
	v_fma_f16 v5, v12, v9, -v5
	v_cndmask_b32_e64 v4, 0, 1, vcc
	v_add_u32_e32 v7, 0xfffffc10, v7
	v_cvt_f32_f16_e32 v5, v5
	v_or_b32_e32 v4, v10, v4
	v_lshl_or_b32 v8, v7, 12, v0
	v_cmp_gt_i32_e32 vcc, 1, v7
	v_cndmask_b32_e32 v4, v8, v4, vcc
	v_and_b32_e32 v8, 7, v4
	v_cmp_lt_i32_e32 vcc, 5, v8
	v_cmp_eq_u32_e64 s[0:1], 3, v8
	v_lshrrev_b32_e32 v8, 2, v4
	v_cvt_f64_f32_e32 v[4:5], v5
	s_or_b64 vcc, s[0:1], vcc
	v_addc_co_u32_e32 v8, vcc, 0, v8, vcc
	v_mul_f64 v[4:5], v[4:5], s[14:15]
	v_cmp_gt_i32_e32 vcc, 31, v7
	v_cndmask_b32_e32 v8, v6, v8, vcc
	v_cmp_ne_u32_e32 vcc, 0, v0
	v_cndmask_b32_e64 v0, 0, 1, vcc
	v_lshl_or_b32 v0, v0, 9, v6
	v_cmp_eq_u32_e32 vcc, s16, v7
	v_cndmask_b32_e32 v0, v8, v0, vcc
	v_lshrrev_b32_e32 v1, 16, v1
	v_and_or_b32 v9, v1, s10, v0
	v_and_or_b32 v0, v5, s18, v4
	v_cmp_ne_u32_e32 vcc, 0, v0
	v_cndmask_b32_e64 v0, 0, 1, vcc
	v_lshrrev_b32_e32 v1, 8, v5
	v_and_or_b32 v4, v1, s17, v0
	v_bfe_u32 v1, v5, 20, 11
	v_sub_u32_e32 v7, 0x3f1, v1
	v_or_b32_e32 v0, 0x1000, v4
	v_med3_i32 v7, v7, 0, 13
	v_lshrrev_b32_e32 v8, v7, v0
	v_lshlrev_b32_e32 v7, v7, v8
	v_cmp_ne_u32_e32 vcc, v7, v0
	v_cndmask_b32_e64 v0, 0, 1, vcc
	v_add_u32_e32 v7, 0xfffffc10, v1
	v_or_b32_e32 v0, v8, v0
	v_lshl_or_b32 v1, v7, 12, v4
	v_cmp_gt_i32_e32 vcc, 1, v7
	v_cndmask_b32_e32 v0, v1, v0, vcc
	v_and_b32_e32 v1, 7, v0
	v_cmp_lt_i32_e32 vcc, 5, v1
	v_cmp_eq_u32_e64 s[0:1], 3, v1
	v_lshrrev_b32_e32 v0, 2, v0
	s_or_b64 vcc, s[0:1], vcc
	v_addc_co_u32_e32 v8, vcc, 0, v0, vcc
	ds_read2_b32 v[0:1], v24 offset0:50 offset1:60
	v_cmp_gt_i32_e32 vcc, 31, v7
	v_cndmask_b32_e32 v8, v6, v8, vcc
	v_cmp_ne_u32_e32 vcc, 0, v4
	v_cndmask_b32_e64 v4, 0, 1, vcc
	s_waitcnt lgkmcnt(0)
	v_lshrrev_b32_e32 v10, 16, v0
	s_waitcnt vmcnt(6)
	v_mul_f16_sdwa v11, v10, v13 dst_sel:DWORD dst_unused:UNUSED_PAD src0_sel:DWORD src1_sel:WORD_1
	v_fma_f16 v11, v0, v13, v11
	v_cvt_f32_f16_e32 v11, v11
	v_lshl_or_b32 v4, v4, 9, v6
	v_cmp_eq_u32_e32 vcc, s16, v7
	v_cndmask_b32_e32 v4, v8, v4, vcc
	v_cvt_f64_f32_e32 v[7:8], v11
	v_lshrrev_b32_e32 v5, 16, v5
	v_and_or_b32 v11, v5, s10, v4
	v_add_co_u32_e32 v2, vcc, s3, v2
	v_mul_f64 v[4:5], v[7:8], s[14:15]
	v_mov_b32_e32 v8, s2
	v_and_b32_e32 v9, 0xffff, v9
	v_addc_co_u32_e32 v3, vcc, v3, v8, vcc
	v_lshl_or_b32 v7, v11, 16, v9
	global_store_dword v[2:3], v7, off
	v_mul_f16_sdwa v0, v0, v13 dst_sel:DWORD dst_unused:UNUSED_PAD src0_sel:DWORD src1_sel:WORD_1
	v_and_or_b32 v4, v5, s18, v4
	v_cmp_ne_u32_e32 vcc, 0, v4
	v_cndmask_b32_e64 v4, 0, 1, vcc
	v_lshrrev_b32_e32 v7, 8, v5
	v_bfe_u32 v8, v5, 20, 11
	v_and_or_b32 v4, v7, s17, v4
	v_sub_u32_e32 v9, 0x3f1, v8
	v_or_b32_e32 v7, 0x1000, v4
	v_med3_i32 v9, v9, 0, 13
	v_lshrrev_b32_e32 v11, v9, v7
	v_lshlrev_b32_e32 v9, v9, v11
	v_cmp_ne_u32_e32 vcc, v9, v7
	v_fma_f16 v0, v13, v10, -v0
	v_cndmask_b32_e64 v7, 0, 1, vcc
	v_add_u32_e32 v9, 0xfffffc10, v8
	v_cvt_f32_f16_e32 v0, v0
	v_or_b32_e32 v7, v11, v7
	v_lshl_or_b32 v8, v9, 12, v4
	v_cmp_gt_i32_e32 vcc, 1, v9
	v_cndmask_b32_e32 v7, v8, v7, vcc
	v_and_b32_e32 v8, 7, v7
	v_cmp_lt_i32_e32 vcc, 5, v8
	v_cmp_eq_u32_e64 s[0:1], 3, v8
	v_lshrrev_b32_e32 v10, 2, v7
	v_cvt_f64_f32_e32 v[7:8], v0
	s_or_b64 vcc, s[0:1], vcc
	v_addc_co_u32_e32 v0, vcc, 0, v10, vcc
	v_mul_f64 v[7:8], v[7:8], s[14:15]
	v_cmp_gt_i32_e32 vcc, 31, v9
	v_cndmask_b32_e32 v0, v6, v0, vcc
	v_cmp_ne_u32_e32 vcc, 0, v4
	v_cndmask_b32_e64 v4, 0, 1, vcc
	v_lshl_or_b32 v4, v4, 9, v6
	v_cmp_eq_u32_e32 vcc, s16, v9
	v_cndmask_b32_e32 v0, v0, v4, vcc
	v_lshrrev_b32_e32 v4, 16, v5
	v_and_or_b32 v0, v4, s10, v0
	v_and_or_b32 v4, v8, s18, v7
	v_cmp_ne_u32_e32 vcc, 0, v4
	v_cndmask_b32_e64 v4, 0, 1, vcc
	v_lshrrev_b32_e32 v5, 8, v8
	v_bfe_u32 v7, v8, 20, 11
	v_and_or_b32 v4, v5, s17, v4
	v_sub_u32_e32 v9, 0x3f1, v7
	v_or_b32_e32 v5, 0x1000, v4
	v_med3_i32 v9, v9, 0, 13
	v_lshrrev_b32_e32 v10, v9, v5
	v_lshlrev_b32_e32 v9, v9, v10
	v_cmp_ne_u32_e32 vcc, v9, v5
	v_cndmask_b32_e64 v5, 0, 1, vcc
	v_add_u32_e32 v7, 0xfffffc10, v7
	v_or_b32_e32 v5, v10, v5
	v_lshl_or_b32 v9, v7, 12, v4
	v_cmp_gt_i32_e32 vcc, 1, v7
	v_cndmask_b32_e32 v5, v9, v5, vcc
	v_and_b32_e32 v9, 7, v5
	v_cmp_lt_i32_e32 vcc, 5, v9
	v_cmp_eq_u32_e64 s[0:1], 3, v9
	v_lshrrev_b32_e32 v9, 16, v1
	v_lshrrev_b32_e32 v5, 2, v5
	s_or_b64 vcc, s[0:1], vcc
	s_waitcnt vmcnt(6)
	v_mul_f16_sdwa v10, v9, v14 dst_sel:DWORD dst_unused:UNUSED_PAD src0_sel:DWORD src1_sel:WORD_1
	v_addc_co_u32_e32 v5, vcc, 0, v5, vcc
	v_fma_f16 v10, v1, v14, v10
	v_cmp_gt_i32_e32 vcc, 31, v7
	v_cvt_f32_f16_e32 v10, v10
	v_cndmask_b32_e32 v5, v6, v5, vcc
	v_cmp_ne_u32_e32 vcc, 0, v4
	v_cndmask_b32_e64 v4, 0, 1, vcc
	v_lshl_or_b32 v4, v4, 9, v6
	v_cmp_eq_u32_e32 vcc, s16, v7
	v_cndmask_b32_e32 v7, v5, v4, vcc
	v_cvt_f64_f32_e32 v[4:5], v10
	v_lshrrev_b32_e32 v8, 16, v8
	v_and_or_b32 v7, v8, s10, v7
	v_and_b32_e32 v0, 0xffff, v0
	v_mul_f64 v[4:5], v[4:5], s[14:15]
	v_lshl_or_b32 v0, v7, 16, v0
	v_mov_b32_e32 v7, s2
	v_add_co_u32_e32 v2, vcc, s3, v2
	v_addc_co_u32_e32 v3, vcc, v3, v7, vcc
	global_store_dword v[2:3], v0, off
	v_and_or_b32 v0, v5, s18, v4
	v_cmp_ne_u32_e32 vcc, 0, v0
	v_cndmask_b32_e64 v0, 0, 1, vcc
	v_lshrrev_b32_e32 v4, 8, v5
	v_bfe_u32 v7, v5, 20, 11
	v_and_or_b32 v4, v4, s17, v0
	v_sub_u32_e32 v8, 0x3f1, v7
	v_or_b32_e32 v0, 0x1000, v4
	v_med3_i32 v8, v8, 0, 13
	v_lshrrev_b32_e32 v10, v8, v0
	v_lshlrev_b32_e32 v8, v8, v10
	v_mul_f16_sdwa v1, v1, v14 dst_sel:DWORD dst_unused:UNUSED_PAD src0_sel:DWORD src1_sel:WORD_1
	v_cmp_ne_u32_e32 vcc, v8, v0
	v_fma_f16 v1, v14, v9, -v1
	v_cndmask_b32_e64 v0, 0, 1, vcc
	v_add_u32_e32 v7, 0xfffffc10, v7
	v_cvt_f32_f16_e32 v1, v1
	v_or_b32_e32 v0, v10, v0
	v_lshl_or_b32 v8, v7, 12, v4
	v_cmp_gt_i32_e32 vcc, 1, v7
	v_cndmask_b32_e32 v0, v8, v0, vcc
	v_and_b32_e32 v8, 7, v0
	v_cmp_lt_i32_e32 vcc, 5, v8
	v_cmp_eq_u32_e64 s[0:1], 3, v8
	v_lshrrev_b32_e32 v8, 2, v0
	v_cvt_f64_f32_e32 v[0:1], v1
	s_or_b64 vcc, s[0:1], vcc
	v_addc_co_u32_e32 v8, vcc, 0, v8, vcc
	v_mul_f64 v[0:1], v[0:1], s[14:15]
	v_cmp_gt_i32_e32 vcc, 31, v7
	v_cndmask_b32_e32 v8, v6, v8, vcc
	v_cmp_ne_u32_e32 vcc, 0, v4
	v_cndmask_b32_e64 v4, 0, 1, vcc
	v_lshl_or_b32 v4, v4, 9, v6
	v_cmp_eq_u32_e32 vcc, s16, v7
	v_cndmask_b32_e32 v4, v8, v4, vcc
	v_and_or_b32 v0, v1, s18, v0
	v_lshrrev_b32_e32 v5, 16, v5
	v_cmp_ne_u32_e32 vcc, 0, v0
	v_and_or_b32 v9, v5, s10, v4
	v_cndmask_b32_e64 v0, 0, 1, vcc
	v_lshrrev_b32_e32 v4, 8, v1
	v_bfe_u32 v5, v1, 20, 11
	v_and_or_b32 v0, v4, s17, v0
	v_sub_u32_e32 v7, 0x3f1, v5
	v_or_b32_e32 v4, 0x1000, v0
	v_med3_i32 v7, v7, 0, 13
	v_lshrrev_b32_e32 v8, v7, v4
	v_lshlrev_b32_e32 v7, v7, v8
	global_load_dword v12, v23, s[6:7] offset:320
	v_cmp_ne_u32_e32 vcc, v7, v4
	v_cndmask_b32_e64 v4, 0, 1, vcc
	v_add_u32_e32 v7, 0xfffffc10, v5
	v_or_b32_e32 v4, v8, v4
	v_lshl_or_b32 v5, v7, 12, v0
	v_cmp_gt_i32_e32 vcc, 1, v7
	v_cndmask_b32_e32 v4, v5, v4, vcc
	v_and_b32_e32 v5, 7, v4
	v_cmp_lt_i32_e32 vcc, 5, v5
	v_cmp_eq_u32_e64 s[0:1], 3, v5
	v_lshrrev_b32_e32 v4, 2, v4
	s_or_b64 vcc, s[0:1], vcc
	v_addc_co_u32_e32 v8, vcc, 0, v4, vcc
	ds_read2_b32 v[4:5], v24 offset0:70 offset1:80
	v_cmp_gt_i32_e32 vcc, 31, v7
	v_cndmask_b32_e32 v8, v6, v8, vcc
	v_cmp_ne_u32_e32 vcc, 0, v0
	v_cndmask_b32_e64 v0, 0, 1, vcc
	s_waitcnt lgkmcnt(0)
	v_lshrrev_b32_e32 v10, 16, v4
	s_waitcnt vmcnt(7)
	v_mul_f16_sdwa v11, v10, v15 dst_sel:DWORD dst_unused:UNUSED_PAD src0_sel:DWORD src1_sel:WORD_1
	v_fma_f16 v11, v4, v15, v11
	v_cvt_f32_f16_e32 v11, v11
	v_lshl_or_b32 v0, v0, 9, v6
	v_cmp_eq_u32_e32 vcc, s16, v7
	v_cndmask_b32_e32 v0, v8, v0, vcc
	v_cvt_f64_f32_e32 v[7:8], v11
	v_lshrrev_b32_e32 v1, 16, v1
	v_and_or_b32 v11, v1, s10, v0
	v_add_co_u32_e32 v2, vcc, s3, v2
	v_mul_f64 v[0:1], v[7:8], s[14:15]
	v_mov_b32_e32 v8, s2
	v_and_b32_e32 v9, 0xffff, v9
	v_addc_co_u32_e32 v3, vcc, v3, v8, vcc
	v_lshl_or_b32 v7, v11, 16, v9
	global_store_dword v[2:3], v7, off
	v_mul_f16_sdwa v4, v4, v15 dst_sel:DWORD dst_unused:UNUSED_PAD src0_sel:DWORD src1_sel:WORD_1
	v_and_or_b32 v0, v1, s18, v0
	v_cmp_ne_u32_e32 vcc, 0, v0
	v_cndmask_b32_e64 v0, 0, 1, vcc
	v_lshrrev_b32_e32 v7, 8, v1
	v_bfe_u32 v8, v1, 20, 11
	v_and_or_b32 v0, v7, s17, v0
	v_sub_u32_e32 v9, 0x3f1, v8
	v_or_b32_e32 v7, 0x1000, v0
	v_med3_i32 v9, v9, 0, 13
	v_lshrrev_b32_e32 v11, v9, v7
	v_lshlrev_b32_e32 v9, v9, v11
	v_cmp_ne_u32_e32 vcc, v9, v7
	v_fma_f16 v4, v15, v10, -v4
	v_cndmask_b32_e64 v7, 0, 1, vcc
	v_add_u32_e32 v9, 0xfffffc10, v8
	v_cvt_f32_f16_e32 v4, v4
	v_or_b32_e32 v7, v11, v7
	v_lshl_or_b32 v8, v9, 12, v0
	v_cmp_gt_i32_e32 vcc, 1, v9
	v_cndmask_b32_e32 v7, v8, v7, vcc
	v_and_b32_e32 v8, 7, v7
	v_cmp_lt_i32_e32 vcc, 5, v8
	v_cmp_eq_u32_e64 s[0:1], 3, v8
	v_lshrrev_b32_e32 v10, 2, v7
	v_cvt_f64_f32_e32 v[7:8], v4
	s_or_b64 vcc, s[0:1], vcc
	v_addc_co_u32_e32 v4, vcc, 0, v10, vcc
	v_mul_f64 v[7:8], v[7:8], s[14:15]
	v_cmp_gt_i32_e32 vcc, 31, v9
	v_cndmask_b32_e32 v4, v6, v4, vcc
	v_cmp_ne_u32_e32 vcc, 0, v0
	v_cndmask_b32_e64 v0, 0, 1, vcc
	v_lshl_or_b32 v0, v0, 9, v6
	v_cmp_eq_u32_e32 vcc, s16, v9
	v_cndmask_b32_e32 v0, v4, v0, vcc
	v_lshrrev_b32_e32 v1, 16, v1
	v_and_or_b32 v4, v1, s10, v0
	v_and_or_b32 v0, v8, s18, v7
	v_cmp_ne_u32_e32 vcc, 0, v0
	v_cndmask_b32_e64 v0, 0, 1, vcc
	v_lshrrev_b32_e32 v1, 8, v8
	v_bfe_u32 v7, v8, 20, 11
	v_and_or_b32 v0, v1, s17, v0
	v_sub_u32_e32 v9, 0x3f1, v7
	v_or_b32_e32 v1, 0x1000, v0
	v_med3_i32 v9, v9, 0, 13
	v_lshrrev_b32_e32 v10, v9, v1
	v_lshlrev_b32_e32 v9, v9, v10
	v_cmp_ne_u32_e32 vcc, v9, v1
	v_cndmask_b32_e64 v1, 0, 1, vcc
	v_or_b32_e32 v1, v10, v1
	global_load_dword v10, v23, s[6:7] offset:360
	global_load_dword v11, v23, s[6:7] offset:400
	;; [unrolled: 1-line block ×3, first 2 shown]
	v_add_u32_e32 v7, 0xfffffc10, v7
	v_lshl_or_b32 v9, v7, 12, v0
	v_cmp_gt_i32_e32 vcc, 1, v7
	v_cndmask_b32_e32 v1, v9, v1, vcc
	v_and_b32_e32 v9, 7, v1
	v_cmp_lt_i32_e32 vcc, 5, v9
	v_cmp_eq_u32_e64 s[0:1], 3, v9
	v_lshrrev_b32_e32 v9, 16, v5
	v_lshrrev_b32_e32 v1, 2, v1
	s_or_b64 vcc, s[0:1], vcc
	s_waitcnt vmcnt(4)
	v_mul_f16_sdwa v14, v9, v12 dst_sel:DWORD dst_unused:UNUSED_PAD src0_sel:DWORD src1_sel:WORD_1
	v_addc_co_u32_e32 v1, vcc, 0, v1, vcc
	v_fma_f16 v14, v5, v12, v14
	v_cmp_gt_i32_e32 vcc, 31, v7
	v_cvt_f32_f16_e32 v14, v14
	v_cndmask_b32_e32 v1, v6, v1, vcc
	v_cmp_ne_u32_e32 vcc, 0, v0
	v_cndmask_b32_e64 v0, 0, 1, vcc
	v_lshl_or_b32 v0, v0, 9, v6
	v_cmp_eq_u32_e32 vcc, s16, v7
	v_cndmask_b32_e32 v7, v1, v0, vcc
	v_cvt_f64_f32_e32 v[0:1], v14
	v_lshrrev_b32_e32 v8, 16, v8
	v_and_or_b32 v7, v8, s10, v7
	v_and_b32_e32 v4, 0xffff, v4
	v_mul_f64 v[0:1], v[0:1], s[14:15]
	v_lshl_or_b32 v4, v7, 16, v4
	v_mov_b32_e32 v7, s2
	v_add_co_u32_e32 v2, vcc, s3, v2
	v_addc_co_u32_e32 v3, vcc, v3, v7, vcc
	global_store_dword v[2:3], v4, off
	v_and_or_b32 v0, v1, s18, v0
	v_cmp_ne_u32_e32 vcc, 0, v0
	v_cndmask_b32_e64 v0, 0, 1, vcc
	v_lshrrev_b32_e32 v4, 8, v1
	v_bfe_u32 v7, v1, 20, 11
	v_and_or_b32 v0, v4, s17, v0
	v_sub_u32_e32 v8, 0x3f1, v7
	v_or_b32_e32 v4, 0x1000, v0
	v_med3_i32 v8, v8, 0, 13
	v_lshrrev_b32_e32 v14, v8, v4
	v_lshlrev_b32_e32 v8, v8, v14
	v_mul_f16_sdwa v5, v5, v12 dst_sel:DWORD dst_unused:UNUSED_PAD src0_sel:DWORD src1_sel:WORD_1
	v_cmp_ne_u32_e32 vcc, v8, v4
	v_fma_f16 v5, v12, v9, -v5
	v_cndmask_b32_e64 v4, 0, 1, vcc
	v_add_u32_e32 v7, 0xfffffc10, v7
	v_cvt_f32_f16_e32 v5, v5
	v_or_b32_e32 v4, v14, v4
	v_lshl_or_b32 v8, v7, 12, v0
	v_cmp_gt_i32_e32 vcc, 1, v7
	v_cndmask_b32_e32 v4, v8, v4, vcc
	v_and_b32_e32 v8, 7, v4
	v_cmp_lt_i32_e32 vcc, 5, v8
	v_cmp_eq_u32_e64 s[0:1], 3, v8
	v_lshrrev_b32_e32 v8, 2, v4
	v_cvt_f64_f32_e32 v[4:5], v5
	s_or_b64 vcc, s[0:1], vcc
	v_addc_co_u32_e32 v8, vcc, 0, v8, vcc
	v_mul_f64 v[4:5], v[4:5], s[14:15]
	v_cmp_gt_i32_e32 vcc, 31, v7
	v_cndmask_b32_e32 v8, v6, v8, vcc
	v_cmp_ne_u32_e32 vcc, 0, v0
	v_cndmask_b32_e64 v0, 0, 1, vcc
	v_lshl_or_b32 v0, v0, 9, v6
	v_cmp_eq_u32_e32 vcc, s16, v7
	v_cndmask_b32_e32 v0, v8, v0, vcc
	v_lshrrev_b32_e32 v1, 16, v1
	v_and_or_b32 v9, v1, s10, v0
	v_and_or_b32 v0, v5, s18, v4
	v_cmp_ne_u32_e32 vcc, 0, v0
	v_cndmask_b32_e64 v0, 0, 1, vcc
	v_lshrrev_b32_e32 v1, 8, v5
	v_and_or_b32 v4, v1, s17, v0
	v_bfe_u32 v1, v5, 20, 11
	v_sub_u32_e32 v7, 0x3f1, v1
	v_or_b32_e32 v0, 0x1000, v4
	v_med3_i32 v7, v7, 0, 13
	v_lshrrev_b32_e32 v8, v7, v0
	v_lshlrev_b32_e32 v7, v7, v8
	v_cmp_ne_u32_e32 vcc, v7, v0
	v_cndmask_b32_e64 v0, 0, 1, vcc
	v_add_u32_e32 v7, 0xfffffc10, v1
	v_or_b32_e32 v0, v8, v0
	v_lshl_or_b32 v1, v7, 12, v4
	v_cmp_gt_i32_e32 vcc, 1, v7
	v_cndmask_b32_e32 v0, v1, v0, vcc
	v_and_b32_e32 v1, 7, v0
	v_cmp_lt_i32_e32 vcc, 5, v1
	v_cmp_eq_u32_e64 s[0:1], 3, v1
	v_lshrrev_b32_e32 v0, 2, v0
	s_or_b64 vcc, s[0:1], vcc
	v_addc_co_u32_e32 v8, vcc, 0, v0, vcc
	ds_read2_b32 v[0:1], v24 offset0:90 offset1:100
	v_cmp_gt_i32_e32 vcc, 31, v7
	v_cndmask_b32_e32 v8, v6, v8, vcc
	v_cmp_ne_u32_e32 vcc, 0, v4
	v_cndmask_b32_e64 v4, 0, 1, vcc
	s_waitcnt lgkmcnt(0)
	v_lshrrev_b32_e32 v12, 16, v0
	s_waitcnt vmcnt(3)
	v_mul_f16_sdwa v14, v12, v10 dst_sel:DWORD dst_unused:UNUSED_PAD src0_sel:DWORD src1_sel:WORD_1
	v_fma_f16 v14, v0, v10, v14
	v_cvt_f32_f16_e32 v14, v14
	v_lshl_or_b32 v4, v4, 9, v6
	v_cmp_eq_u32_e32 vcc, s16, v7
	v_cndmask_b32_e32 v4, v8, v4, vcc
	v_cvt_f64_f32_e32 v[7:8], v14
	v_lshrrev_b32_e32 v5, 16, v5
	v_and_or_b32 v14, v5, s10, v4
	v_add_co_u32_e32 v2, vcc, s3, v2
	v_mul_f64 v[4:5], v[7:8], s[14:15]
	v_mov_b32_e32 v8, s2
	v_and_b32_e32 v9, 0xffff, v9
	v_addc_co_u32_e32 v3, vcc, v3, v8, vcc
	v_lshl_or_b32 v7, v14, 16, v9
	global_store_dword v[2:3], v7, off
	v_mul_f16_sdwa v0, v0, v10 dst_sel:DWORD dst_unused:UNUSED_PAD src0_sel:DWORD src1_sel:WORD_1
	v_and_or_b32 v4, v5, s18, v4
	v_cmp_ne_u32_e32 vcc, 0, v4
	v_cndmask_b32_e64 v4, 0, 1, vcc
	v_lshrrev_b32_e32 v7, 8, v5
	v_bfe_u32 v8, v5, 20, 11
	v_and_or_b32 v4, v7, s17, v4
	v_sub_u32_e32 v9, 0x3f1, v8
	v_or_b32_e32 v7, 0x1000, v4
	v_med3_i32 v9, v9, 0, 13
	v_lshrrev_b32_e32 v14, v9, v7
	v_lshlrev_b32_e32 v9, v9, v14
	v_cmp_ne_u32_e32 vcc, v9, v7
	v_fma_f16 v0, v10, v12, -v0
	v_cndmask_b32_e64 v7, 0, 1, vcc
	v_add_u32_e32 v9, 0xfffffc10, v8
	v_cvt_f32_f16_e32 v0, v0
	v_or_b32_e32 v7, v14, v7
	v_lshl_or_b32 v8, v9, 12, v4
	v_cmp_gt_i32_e32 vcc, 1, v9
	v_cndmask_b32_e32 v7, v8, v7, vcc
	v_and_b32_e32 v8, 7, v7
	v_cmp_lt_i32_e32 vcc, 5, v8
	v_cmp_eq_u32_e64 s[0:1], 3, v8
	v_lshrrev_b32_e32 v10, 2, v7
	v_cvt_f64_f32_e32 v[7:8], v0
	s_or_b64 vcc, s[0:1], vcc
	v_addc_co_u32_e32 v0, vcc, 0, v10, vcc
	v_mul_f64 v[7:8], v[7:8], s[14:15]
	v_cmp_gt_i32_e32 vcc, 31, v9
	v_cndmask_b32_e32 v0, v6, v0, vcc
	v_cmp_ne_u32_e32 vcc, 0, v4
	v_cndmask_b32_e64 v4, 0, 1, vcc
	v_lshl_or_b32 v4, v4, 9, v6
	v_cmp_eq_u32_e32 vcc, s16, v9
	v_cndmask_b32_e32 v0, v0, v4, vcc
	v_lshrrev_b32_e32 v4, 16, v5
	v_and_or_b32 v0, v4, s10, v0
	v_and_or_b32 v4, v8, s18, v7
	v_cmp_ne_u32_e32 vcc, 0, v4
	v_cndmask_b32_e64 v4, 0, 1, vcc
	v_lshrrev_b32_e32 v5, 8, v8
	v_bfe_u32 v7, v8, 20, 11
	v_and_or_b32 v4, v5, s17, v4
	v_sub_u32_e32 v9, 0x3f1, v7
	v_or_b32_e32 v5, 0x1000, v4
	v_med3_i32 v9, v9, 0, 13
	v_lshrrev_b32_e32 v10, v9, v5
	v_lshlrev_b32_e32 v9, v9, v10
	v_cmp_ne_u32_e32 vcc, v9, v5
	v_cndmask_b32_e64 v5, 0, 1, vcc
	v_add_u32_e32 v7, 0xfffffc10, v7
	v_or_b32_e32 v5, v10, v5
	v_lshl_or_b32 v9, v7, 12, v4
	v_cmp_gt_i32_e32 vcc, 1, v7
	v_cndmask_b32_e32 v5, v9, v5, vcc
	v_and_b32_e32 v9, 7, v5
	v_cmp_lt_i32_e32 vcc, 5, v9
	v_cmp_eq_u32_e64 s[0:1], 3, v9
	v_lshrrev_b32_e32 v9, 16, v1
	v_lshrrev_b32_e32 v5, 2, v5
	s_or_b64 vcc, s[0:1], vcc
	s_waitcnt vmcnt(3)
	v_mul_f16_sdwa v10, v9, v11 dst_sel:DWORD dst_unused:UNUSED_PAD src0_sel:DWORD src1_sel:WORD_1
	v_addc_co_u32_e32 v5, vcc, 0, v5, vcc
	v_fma_f16 v10, v1, v11, v10
	v_cmp_gt_i32_e32 vcc, 31, v7
	v_cvt_f32_f16_e32 v10, v10
	v_cndmask_b32_e32 v5, v6, v5, vcc
	v_cmp_ne_u32_e32 vcc, 0, v4
	v_cndmask_b32_e64 v4, 0, 1, vcc
	v_lshl_or_b32 v4, v4, 9, v6
	v_cmp_eq_u32_e32 vcc, s16, v7
	v_cndmask_b32_e32 v7, v5, v4, vcc
	v_cvt_f64_f32_e32 v[4:5], v10
	v_lshrrev_b32_e32 v8, 16, v8
	v_and_or_b32 v7, v8, s10, v7
	v_and_b32_e32 v0, 0xffff, v0
	v_mul_f64 v[4:5], v[4:5], s[14:15]
	v_lshl_or_b32 v0, v7, 16, v0
	v_mov_b32_e32 v7, s2
	v_add_co_u32_e32 v2, vcc, s3, v2
	v_addc_co_u32_e32 v3, vcc, v3, v7, vcc
	global_store_dword v[2:3], v0, off
	v_and_or_b32 v0, v5, s18, v4
	v_cmp_ne_u32_e32 vcc, 0, v0
	v_cndmask_b32_e64 v0, 0, 1, vcc
	v_lshrrev_b32_e32 v4, 8, v5
	v_bfe_u32 v7, v5, 20, 11
	v_and_or_b32 v4, v4, s17, v0
	v_sub_u32_e32 v8, 0x3f1, v7
	v_or_b32_e32 v0, 0x1000, v4
	v_med3_i32 v8, v8, 0, 13
	v_lshrrev_b32_e32 v10, v8, v0
	v_lshlrev_b32_e32 v8, v8, v10
	v_mul_f16_sdwa v1, v1, v11 dst_sel:DWORD dst_unused:UNUSED_PAD src0_sel:DWORD src1_sel:WORD_1
	v_cmp_ne_u32_e32 vcc, v8, v0
	v_fma_f16 v1, v11, v9, -v1
	v_cndmask_b32_e64 v0, 0, 1, vcc
	v_add_u32_e32 v7, 0xfffffc10, v7
	v_cvt_f32_f16_e32 v1, v1
	v_or_b32_e32 v0, v10, v0
	v_lshl_or_b32 v8, v7, 12, v4
	v_cmp_gt_i32_e32 vcc, 1, v7
	v_cndmask_b32_e32 v0, v8, v0, vcc
	v_and_b32_e32 v8, 7, v0
	v_cmp_lt_i32_e32 vcc, 5, v8
	v_cmp_eq_u32_e64 s[0:1], 3, v8
	v_lshrrev_b32_e32 v8, 2, v0
	v_cvt_f64_f32_e32 v[0:1], v1
	s_or_b64 vcc, s[0:1], vcc
	v_addc_co_u32_e32 v8, vcc, 0, v8, vcc
	v_mul_f64 v[0:1], v[0:1], s[14:15]
	v_cmp_gt_i32_e32 vcc, 31, v7
	v_cndmask_b32_e32 v8, v6, v8, vcc
	v_cmp_ne_u32_e32 vcc, 0, v4
	v_cndmask_b32_e64 v4, 0, 1, vcc
	v_lshl_or_b32 v4, v4, 9, v6
	v_cmp_eq_u32_e32 vcc, s16, v7
	v_cndmask_b32_e32 v4, v8, v4, vcc
	v_and_or_b32 v0, v1, s18, v0
	v_lshrrev_b32_e32 v5, 16, v5
	v_cmp_ne_u32_e32 vcc, 0, v0
	v_and_or_b32 v9, v5, s10, v4
	v_cndmask_b32_e64 v0, 0, 1, vcc
	v_lshrrev_b32_e32 v4, 8, v1
	v_bfe_u32 v5, v1, 20, 11
	v_and_or_b32 v0, v4, s17, v0
	v_sub_u32_e32 v7, 0x3f1, v5
	v_or_b32_e32 v4, 0x1000, v0
	v_med3_i32 v7, v7, 0, 13
	v_lshrrev_b32_e32 v8, v7, v4
	v_lshlrev_b32_e32 v7, v7, v8
	v_cmp_ne_u32_e32 vcc, v7, v4
	v_cndmask_b32_e64 v4, 0, 1, vcc
	v_add_u32_e32 v7, 0xfffffc10, v5
	v_or_b32_e32 v4, v8, v4
	v_lshl_or_b32 v5, v7, 12, v0
	v_cmp_gt_i32_e32 vcc, 1, v7
	v_cndmask_b32_e32 v4, v5, v4, vcc
	v_and_b32_e32 v5, 7, v4
	v_cmp_lt_i32_e32 vcc, 5, v5
	v_cmp_eq_u32_e64 s[0:1], 3, v5
	v_lshrrev_b32_e32 v4, 2, v4
	s_or_b64 vcc, s[0:1], vcc
	v_addc_co_u32_e32 v8, vcc, 0, v4, vcc
	ds_read2_b32 v[4:5], v24 offset0:110 offset1:120
	v_cmp_gt_i32_e32 vcc, 31, v7
	v_cndmask_b32_e32 v8, v6, v8, vcc
	v_cmp_ne_u32_e32 vcc, 0, v0
	v_cndmask_b32_e64 v0, 0, 1, vcc
	s_waitcnt lgkmcnt(0)
	v_lshrrev_b32_e32 v10, 16, v4
	s_waitcnt vmcnt(3)
	v_mul_f16_sdwa v11, v10, v13 dst_sel:DWORD dst_unused:UNUSED_PAD src0_sel:DWORD src1_sel:WORD_1
	v_fma_f16 v11, v4, v13, v11
	v_cvt_f32_f16_e32 v11, v11
	v_lshl_or_b32 v0, v0, 9, v6
	v_cmp_eq_u32_e32 vcc, s16, v7
	v_cndmask_b32_e32 v0, v8, v0, vcc
	v_cvt_f64_f32_e32 v[7:8], v11
	v_lshrrev_b32_e32 v1, 16, v1
	v_and_or_b32 v11, v1, s10, v0
	v_add_co_u32_e32 v2, vcc, s3, v2
	v_mul_f64 v[0:1], v[7:8], s[14:15]
	v_mov_b32_e32 v8, s2
	v_and_b32_e32 v9, 0xffff, v9
	v_addc_co_u32_e32 v3, vcc, v3, v8, vcc
	v_lshl_or_b32 v7, v11, 16, v9
	global_store_dword v[2:3], v7, off
	v_mul_f16_sdwa v4, v4, v13 dst_sel:DWORD dst_unused:UNUSED_PAD src0_sel:DWORD src1_sel:WORD_1
	v_and_or_b32 v0, v1, s18, v0
	v_cmp_ne_u32_e32 vcc, 0, v0
	v_cndmask_b32_e64 v0, 0, 1, vcc
	v_lshrrev_b32_e32 v7, 8, v1
	v_bfe_u32 v8, v1, 20, 11
	v_and_or_b32 v0, v7, s17, v0
	v_sub_u32_e32 v9, 0x3f1, v8
	v_or_b32_e32 v7, 0x1000, v0
	v_med3_i32 v9, v9, 0, 13
	v_lshrrev_b32_e32 v11, v9, v7
	v_lshlrev_b32_e32 v9, v9, v11
	v_cmp_ne_u32_e32 vcc, v9, v7
	v_fma_f16 v4, v13, v10, -v4
	v_cndmask_b32_e64 v7, 0, 1, vcc
	v_add_u32_e32 v9, 0xfffffc10, v8
	v_cvt_f32_f16_e32 v4, v4
	v_or_b32_e32 v7, v11, v7
	v_lshl_or_b32 v8, v9, 12, v0
	v_cmp_gt_i32_e32 vcc, 1, v9
	v_cndmask_b32_e32 v7, v8, v7, vcc
	v_and_b32_e32 v8, 7, v7
	v_cmp_lt_i32_e32 vcc, 5, v8
	v_cmp_eq_u32_e64 s[0:1], 3, v8
	v_lshrrev_b32_e32 v10, 2, v7
	v_cvt_f64_f32_e32 v[7:8], v4
	s_or_b64 vcc, s[0:1], vcc
	v_addc_co_u32_e32 v4, vcc, 0, v10, vcc
	v_mul_f64 v[7:8], v[7:8], s[14:15]
	v_cmp_gt_i32_e32 vcc, 31, v9
	v_cndmask_b32_e32 v4, v6, v4, vcc
	v_cmp_ne_u32_e32 vcc, 0, v0
	v_cndmask_b32_e64 v0, 0, 1, vcc
	v_lshl_or_b32 v0, v0, 9, v6
	v_cmp_eq_u32_e32 vcc, s16, v9
	v_cndmask_b32_e32 v0, v4, v0, vcc
	v_lshrrev_b32_e32 v1, 16, v1
	v_and_or_b32 v0, v1, s10, v0
	v_and_or_b32 v1, v8, s18, v7
	v_cmp_ne_u32_e32 vcc, 0, v1
	v_cndmask_b32_e64 v1, 0, 1, vcc
	v_lshrrev_b32_e32 v4, 8, v8
	v_bfe_u32 v7, v8, 20, 11
	v_and_or_b32 v1, v4, s17, v1
	v_sub_u32_e32 v9, 0x3f1, v7
	v_or_b32_e32 v4, 0x1000, v1
	v_med3_i32 v9, v9, 0, 13
	v_lshrrev_b32_e32 v10, v9, v4
	v_lshlrev_b32_e32 v9, v9, v10
	v_cmp_ne_u32_e32 vcc, v9, v4
	v_cndmask_b32_e64 v4, 0, 1, vcc
	v_add_u32_e32 v7, 0xfffffc10, v7
	v_or_b32_e32 v4, v10, v4
	v_lshl_or_b32 v9, v7, 12, v1
	v_cmp_gt_i32_e32 vcc, 1, v7
	v_cndmask_b32_e32 v4, v9, v4, vcc
	v_and_b32_e32 v9, 7, v4
	v_cmp_lt_i32_e32 vcc, 5, v9
	v_cmp_eq_u32_e64 s[0:1], 3, v9
	v_lshrrev_b32_e32 v4, 2, v4
	s_or_b64 vcc, s[0:1], vcc
	v_addc_co_u32_e32 v4, vcc, 0, v4, vcc
	v_cmp_gt_i32_e32 vcc, 31, v7
	v_cndmask_b32_e32 v4, v6, v4, vcc
	v_cmp_ne_u32_e32 vcc, 0, v1
	v_cndmask_b32_e64 v1, 0, 1, vcc
	v_lshl_or_b32 v1, v1, 9, v6
	v_cmp_eq_u32_e32 vcc, s16, v7
	v_cndmask_b32_e32 v1, v4, v1, vcc
	v_lshrrev_b32_e32 v4, 16, v8
	v_and_or_b32 v1, v4, s10, v1
	v_and_b32_e32 v0, 0xffff, v0
	v_lshl_or_b32 v4, v1, 16, v0
	v_mov_b32_e32 v1, s2
	v_add_co_u32_e32 v0, vcc, s3, v2
	v_addc_co_u32_e32 v1, vcc, v3, v1, vcc
	global_store_dword v[0:1], v4, off
	global_load_dword v4, v23, s[6:7] offset:480
	v_lshrrev_b32_e32 v7, 16, v5
	s_waitcnt vmcnt(0)
	v_mul_f16_sdwa v2, v7, v4 dst_sel:DWORD dst_unused:UNUSED_PAD src0_sel:DWORD src1_sel:WORD_1
	v_fma_f16 v2, v5, v4, v2
	v_cvt_f32_f16_e32 v2, v2
	v_mul_f16_sdwa v5, v5, v4 dst_sel:DWORD dst_unused:UNUSED_PAD src0_sel:DWORD src1_sel:WORD_1
	v_fma_f16 v4, v4, v7, -v5
	v_cvt_f32_f16_e32 v4, v4
	v_cvt_f64_f32_e32 v[2:3], v2
	v_cvt_f64_f32_e32 v[4:5], v4
	v_mul_f64 v[2:3], v[2:3], s[14:15]
	v_mul_f64 v[4:5], v[4:5], s[14:15]
	v_and_or_b32 v2, v3, s18, v2
	v_cmp_ne_u32_e32 vcc, 0, v2
	v_cndmask_b32_e64 v2, 0, 1, vcc
	v_lshrrev_b32_e32 v8, 8, v3
	v_bfe_u32 v9, v3, 20, 11
	v_and_or_b32 v2, v8, s17, v2
	v_sub_u32_e32 v10, 0x3f1, v9
	v_or_b32_e32 v8, 0x1000, v2
	v_med3_i32 v10, v10, 0, 13
	v_lshrrev_b32_e32 v11, v10, v8
	v_lshlrev_b32_e32 v10, v10, v11
	v_cmp_ne_u32_e32 vcc, v10, v8
	v_cndmask_b32_e64 v8, 0, 1, vcc
	v_add_u32_e32 v9, 0xfffffc10, v9
	v_or_b32_e32 v8, v11, v8
	v_lshl_or_b32 v10, v9, 12, v2
	v_cmp_gt_i32_e32 vcc, 1, v9
	v_cndmask_b32_e32 v8, v10, v8, vcc
	v_and_b32_e32 v10, 7, v8
	v_cmp_lt_i32_e32 vcc, 5, v10
	v_cmp_eq_u32_e64 s[0:1], 3, v10
	v_lshrrev_b32_e32 v7, 2, v8
	s_or_b64 vcc, s[0:1], vcc
	v_addc_co_u32_e32 v7, vcc, 0, v7, vcc
	v_cmp_gt_i32_e32 vcc, 31, v9
	v_cndmask_b32_e32 v7, v6, v7, vcc
	v_cmp_ne_u32_e32 vcc, 0, v2
	v_cndmask_b32_e64 v2, 0, 1, vcc
	v_lshl_or_b32 v2, v2, 9, v6
	v_cmp_eq_u32_e32 vcc, s16, v9
	v_cndmask_b32_e32 v2, v7, v2, vcc
	v_lshrrev_b32_e32 v3, 16, v3
	v_and_or_b32 v2, v3, s10, v2
	v_and_or_b32 v3, v5, s18, v4
	v_cmp_ne_u32_e32 vcc, 0, v3
	v_cndmask_b32_e64 v3, 0, 1, vcc
	v_lshrrev_b32_e32 v4, 8, v5
	v_bfe_u32 v7, v5, 20, 11
	v_and_or_b32 v3, v4, s17, v3
	v_sub_u32_e32 v8, 0x3f1, v7
	v_or_b32_e32 v4, 0x1000, v3
	v_med3_i32 v8, v8, 0, 13
	v_lshrrev_b32_e32 v9, v8, v4
	v_lshlrev_b32_e32 v8, v8, v9
	v_cmp_ne_u32_e32 vcc, v8, v4
	v_cndmask_b32_e64 v4, 0, 1, vcc
	v_add_u32_e32 v7, 0xfffffc10, v7
	v_or_b32_e32 v4, v9, v4
	v_lshl_or_b32 v8, v7, 12, v3
	v_cmp_gt_i32_e32 vcc, 1, v7
	v_cndmask_b32_e32 v4, v8, v4, vcc
	v_and_b32_e32 v8, 7, v4
	v_cmp_lt_i32_e32 vcc, 5, v8
	v_cmp_eq_u32_e64 s[0:1], 3, v8
	v_lshrrev_b32_e32 v4, 2, v4
	s_or_b64 vcc, s[0:1], vcc
	v_addc_co_u32_e32 v4, vcc, 0, v4, vcc
	v_cmp_gt_i32_e32 vcc, 31, v7
	v_cndmask_b32_e32 v4, v6, v4, vcc
	v_cmp_ne_u32_e32 vcc, 0, v3
	v_cndmask_b32_e64 v3, 0, 1, vcc
	v_lshl_or_b32 v3, v3, 9, v6
	v_cmp_eq_u32_e32 vcc, s16, v7
	v_cndmask_b32_e32 v3, v4, v3, vcc
	v_lshrrev_b32_e32 v4, 16, v5
	v_and_or_b32 v3, v4, s10, v3
	v_and_b32_e32 v2, 0xffff, v2
	v_lshl_or_b32 v2, v3, 16, v2
	v_mov_b32_e32 v3, s2
	v_add_co_u32_e32 v0, vcc, s3, v0
	v_addc_co_u32_e32 v1, vcc, v1, v3, vcc
	global_store_dword v[0:1], v2, off
	global_load_dword v7, v23, s[6:7] offset:520
	ds_read2_b32 v[2:3], v24 offset0:130 offset1:140
	s_waitcnt lgkmcnt(0)
	v_lshrrev_b32_e32 v8, 16, v2
	s_waitcnt vmcnt(0)
	v_mul_f16_sdwa v4, v8, v7 dst_sel:DWORD dst_unused:UNUSED_PAD src0_sel:DWORD src1_sel:WORD_1
	v_fma_f16 v4, v2, v7, v4
	v_cvt_f32_f16_e32 v4, v4
	v_mul_f16_sdwa v2, v2, v7 dst_sel:DWORD dst_unused:UNUSED_PAD src0_sel:DWORD src1_sel:WORD_1
	v_fma_f16 v2, v7, v8, -v2
	v_cvt_f32_f16_e32 v2, v2
	v_cvt_f64_f32_e32 v[4:5], v4
	v_cvt_f64_f32_e32 v[7:8], v2
	v_mul_f64 v[4:5], v[4:5], s[14:15]
	v_mul_f64 v[7:8], v[7:8], s[14:15]
	v_and_or_b32 v4, v5, s18, v4
	v_cmp_ne_u32_e32 vcc, 0, v4
	v_cndmask_b32_e64 v4, 0, 1, vcc
	v_lshrrev_b32_e32 v9, 8, v5
	v_bfe_u32 v10, v5, 20, 11
	v_and_or_b32 v4, v9, s17, v4
	v_sub_u32_e32 v11, 0x3f1, v10
	v_or_b32_e32 v9, 0x1000, v4
	v_med3_i32 v11, v11, 0, 13
	v_lshrrev_b32_e32 v12, v11, v9
	v_lshlrev_b32_e32 v11, v11, v12
	v_cmp_ne_u32_e32 vcc, v11, v9
	v_cndmask_b32_e64 v9, 0, 1, vcc
	v_add_u32_e32 v10, 0xfffffc10, v10
	v_or_b32_e32 v9, v12, v9
	v_lshl_or_b32 v11, v10, 12, v4
	v_cmp_gt_i32_e32 vcc, 1, v10
	v_cndmask_b32_e32 v9, v11, v9, vcc
	v_and_b32_e32 v11, 7, v9
	v_cmp_lt_i32_e32 vcc, 5, v11
	v_cmp_eq_u32_e64 s[0:1], 3, v11
	v_lshrrev_b32_e32 v9, 2, v9
	s_or_b64 vcc, s[0:1], vcc
	v_addc_co_u32_e32 v2, vcc, 0, v9, vcc
	v_cmp_gt_i32_e32 vcc, 31, v10
	v_cndmask_b32_e32 v2, v6, v2, vcc
	v_cmp_ne_u32_e32 vcc, 0, v4
	v_cndmask_b32_e64 v4, 0, 1, vcc
	v_lshl_or_b32 v4, v4, 9, v6
	v_cmp_eq_u32_e32 vcc, s16, v10
	v_cndmask_b32_e32 v2, v2, v4, vcc
	v_lshrrev_b32_e32 v4, 16, v5
	v_and_or_b32 v2, v4, s10, v2
	v_and_or_b32 v4, v8, s18, v7
	v_cmp_ne_u32_e32 vcc, 0, v4
	v_cndmask_b32_e64 v4, 0, 1, vcc
	v_lshrrev_b32_e32 v5, 8, v8
	v_bfe_u32 v7, v8, 20, 11
	v_and_or_b32 v4, v5, s17, v4
	v_sub_u32_e32 v9, 0x3f1, v7
	v_or_b32_e32 v5, 0x1000, v4
	v_med3_i32 v9, v9, 0, 13
	v_lshrrev_b32_e32 v10, v9, v5
	v_lshlrev_b32_e32 v9, v9, v10
	v_cmp_ne_u32_e32 vcc, v9, v5
	v_cndmask_b32_e64 v5, 0, 1, vcc
	v_add_u32_e32 v7, 0xfffffc10, v7
	v_or_b32_e32 v5, v10, v5
	v_lshl_or_b32 v9, v7, 12, v4
	v_cmp_gt_i32_e32 vcc, 1, v7
	v_cndmask_b32_e32 v5, v9, v5, vcc
	v_and_b32_e32 v9, 7, v5
	v_cmp_lt_i32_e32 vcc, 5, v9
	v_cmp_eq_u32_e64 s[0:1], 3, v9
	v_lshrrev_b32_e32 v5, 2, v5
	s_or_b64 vcc, s[0:1], vcc
	v_addc_co_u32_e32 v5, vcc, 0, v5, vcc
	v_cmp_gt_i32_e32 vcc, 31, v7
	v_cndmask_b32_e32 v5, v6, v5, vcc
	v_cmp_ne_u32_e32 vcc, 0, v4
	v_cndmask_b32_e64 v4, 0, 1, vcc
	v_lshl_or_b32 v4, v4, 9, v6
	v_cmp_eq_u32_e32 vcc, s16, v7
	v_cndmask_b32_e32 v4, v5, v4, vcc
	v_lshrrev_b32_e32 v5, 16, v8
	v_and_or_b32 v4, v5, s10, v4
	v_and_b32_e32 v2, 0xffff, v2
	v_lshl_or_b32 v2, v4, 16, v2
	v_mov_b32_e32 v4, s2
	v_add_co_u32_e32 v0, vcc, s3, v0
	v_addc_co_u32_e32 v1, vcc, v1, v4, vcc
	global_store_dword v[0:1], v2, off
	global_load_dword v2, v23, s[6:7] offset:560
	v_lshrrev_b32_e32 v7, 16, v3
	s_waitcnt vmcnt(0)
	v_mul_f16_sdwa v4, v7, v2 dst_sel:DWORD dst_unused:UNUSED_PAD src0_sel:DWORD src1_sel:WORD_1
	v_fma_f16 v4, v3, v2, v4
	v_cvt_f32_f16_e32 v4, v4
	v_mul_f16_sdwa v3, v3, v2 dst_sel:DWORD dst_unused:UNUSED_PAD src0_sel:DWORD src1_sel:WORD_1
	v_fma_f16 v2, v2, v7, -v3
	v_cvt_f32_f16_e32 v2, v2
	v_cvt_f64_f32_e32 v[4:5], v4
	v_cvt_f64_f32_e32 v[2:3], v2
	v_mul_f64 v[4:5], v[4:5], s[14:15]
	v_mul_f64 v[2:3], v[2:3], s[14:15]
	v_and_or_b32 v4, v5, s18, v4
	v_cmp_ne_u32_e32 vcc, 0, v4
	v_cndmask_b32_e64 v4, 0, 1, vcc
	v_lshrrev_b32_e32 v8, 8, v5
	v_bfe_u32 v9, v5, 20, 11
	v_and_or_b32 v4, v8, s17, v4
	v_sub_u32_e32 v10, 0x3f1, v9
	v_or_b32_e32 v8, 0x1000, v4
	v_med3_i32 v10, v10, 0, 13
	v_lshrrev_b32_e32 v11, v10, v8
	v_lshlrev_b32_e32 v10, v10, v11
	v_cmp_ne_u32_e32 vcc, v10, v8
	v_cndmask_b32_e64 v8, 0, 1, vcc
	v_add_u32_e32 v9, 0xfffffc10, v9
	v_or_b32_e32 v8, v11, v8
	v_lshl_or_b32 v10, v9, 12, v4
	v_cmp_gt_i32_e32 vcc, 1, v9
	v_cndmask_b32_e32 v8, v10, v8, vcc
	v_and_b32_e32 v10, 7, v8
	v_cmp_lt_i32_e32 vcc, 5, v10
	v_cmp_eq_u32_e64 s[0:1], 3, v10
	v_lshrrev_b32_e32 v7, 2, v8
	s_or_b64 vcc, s[0:1], vcc
	v_addc_co_u32_e32 v7, vcc, 0, v7, vcc
	v_cmp_gt_i32_e32 vcc, 31, v9
	v_cndmask_b32_e32 v7, v6, v7, vcc
	v_cmp_ne_u32_e32 vcc, 0, v4
	v_cndmask_b32_e64 v4, 0, 1, vcc
	v_lshl_or_b32 v4, v4, 9, v6
	v_cmp_eq_u32_e32 vcc, s16, v9
	v_and_or_b32 v2, v3, s18, v2
	v_cndmask_b32_e32 v4, v7, v4, vcc
	v_lshrrev_b32_e32 v5, 16, v5
	v_cmp_ne_u32_e32 vcc, 0, v2
	v_and_or_b32 v4, v5, s10, v4
	v_cndmask_b32_e64 v2, 0, 1, vcc
	v_lshrrev_b32_e32 v5, 8, v3
	v_bfe_u32 v7, v3, 20, 11
	v_and_or_b32 v2, v5, s17, v2
	v_sub_u32_e32 v8, 0x3f1, v7
	v_or_b32_e32 v5, 0x1000, v2
	v_med3_i32 v8, v8, 0, 13
	v_lshrrev_b32_e32 v9, v8, v5
	v_lshlrev_b32_e32 v8, v8, v9
	v_cmp_ne_u32_e32 vcc, v8, v5
	v_cndmask_b32_e64 v5, 0, 1, vcc
	v_add_u32_e32 v7, 0xfffffc10, v7
	v_or_b32_e32 v5, v9, v5
	v_lshl_or_b32 v8, v7, 12, v2
	v_cmp_gt_i32_e32 vcc, 1, v7
	v_cndmask_b32_e32 v5, v8, v5, vcc
	v_and_b32_e32 v8, 7, v5
	v_cmp_lt_i32_e32 vcc, 5, v8
	v_cmp_eq_u32_e64 s[0:1], 3, v8
	v_lshrrev_b32_e32 v5, 2, v5
	s_or_b64 vcc, s[0:1], vcc
	v_addc_co_u32_e32 v5, vcc, 0, v5, vcc
	v_cmp_gt_i32_e32 vcc, 31, v7
	v_cndmask_b32_e32 v5, v6, v5, vcc
	v_cmp_ne_u32_e32 vcc, 0, v2
	v_cndmask_b32_e64 v2, 0, 1, vcc
	v_lshl_or_b32 v2, v2, 9, v6
	v_cmp_eq_u32_e32 vcc, s16, v7
	v_cndmask_b32_e32 v2, v5, v2, vcc
	v_lshrrev_b32_e32 v3, 16, v3
	v_and_or_b32 v2, v3, s10, v2
	v_and_b32_e32 v3, 0xffff, v4
	v_lshl_or_b32 v2, v2, 16, v3
	v_mov_b32_e32 v3, s2
	v_add_co_u32_e32 v0, vcc, s3, v0
	v_addc_co_u32_e32 v1, vcc, v1, v3, vcc
	global_store_dword v[0:1], v2, off
	global_load_dword v4, v23, s[6:7] offset:600
	v_lshrrev_b32_e32 v5, 16, v16
	s_waitcnt vmcnt(0)
	v_mul_f16_sdwa v2, v5, v4 dst_sel:DWORD dst_unused:UNUSED_PAD src0_sel:DWORD src1_sel:WORD_1
	v_fma_f16 v2, v16, v4, v2
	v_cvt_f32_f16_e32 v2, v2
	v_cvt_f64_f32_e32 v[2:3], v2
	v_mul_f64 v[2:3], v[2:3], s[14:15]
	v_and_or_b32 v2, v3, s18, v2
	v_cmp_ne_u32_e32 vcc, 0, v2
	v_cndmask_b32_e64 v2, 0, 1, vcc
	v_lshrrev_b32_e32 v7, 8, v3
	v_bfe_u32 v8, v3, 20, 11
	v_and_or_b32 v2, v7, s17, v2
	v_sub_u32_e32 v9, 0x3f1, v8
	v_or_b32_e32 v7, 0x1000, v2
	v_med3_i32 v9, v9, 0, 13
	v_lshrrev_b32_e32 v10, v9, v7
	v_lshlrev_b32_e32 v9, v9, v10
	v_cmp_ne_u32_e32 vcc, v9, v7
	v_cndmask_b32_e64 v7, 0, 1, vcc
	v_or_b32_e32 v7, v10, v7
	v_mul_f16_sdwa v10, v16, v4 dst_sel:DWORD dst_unused:UNUSED_PAD src0_sel:DWORD src1_sel:WORD_1
	v_fma_f16 v4, v4, v5, -v10
	v_cvt_f32_f16_e32 v4, v4
	v_add_u32_e32 v8, 0xfffffc10, v8
	v_lshl_or_b32 v9, v8, 12, v2
	v_cmp_gt_i32_e32 vcc, 1, v8
	v_cvt_f64_f32_e32 v[4:5], v4
	v_cndmask_b32_e32 v7, v9, v7, vcc
	v_and_b32_e32 v9, 7, v7
	v_cmp_lt_i32_e32 vcc, 5, v9
	v_cmp_eq_u32_e64 s[0:1], 3, v9
	v_mul_f64 v[4:5], v[4:5], s[14:15]
	v_lshrrev_b32_e32 v7, 2, v7
	s_or_b64 vcc, s[0:1], vcc
	v_addc_co_u32_e32 v7, vcc, 0, v7, vcc
	v_cmp_gt_i32_e32 vcc, 31, v8
	v_cndmask_b32_e32 v7, v6, v7, vcc
	v_cmp_ne_u32_e32 vcc, 0, v2
	v_cndmask_b32_e64 v2, 0, 1, vcc
	v_lshl_or_b32 v2, v2, 9, v6
	v_cmp_eq_u32_e32 vcc, s16, v8
	v_cndmask_b32_e32 v2, v7, v2, vcc
	v_lshrrev_b32_e32 v3, 16, v3
	v_and_or_b32 v2, v3, s10, v2
	v_and_or_b32 v3, v5, s18, v4
	v_cmp_ne_u32_e32 vcc, 0, v3
	v_cndmask_b32_e64 v3, 0, 1, vcc
	v_lshrrev_b32_e32 v4, 8, v5
	v_bfe_u32 v7, v5, 20, 11
	v_and_or_b32 v3, v4, s17, v3
	v_sub_u32_e32 v8, 0x3f1, v7
	v_or_b32_e32 v4, 0x1000, v3
	v_med3_i32 v8, v8, 0, 13
	v_lshrrev_b32_e32 v9, v8, v4
	v_lshlrev_b32_e32 v8, v8, v9
	v_cmp_ne_u32_e32 vcc, v8, v4
	v_cndmask_b32_e64 v4, 0, 1, vcc
	v_add_u32_e32 v7, 0xfffffc10, v7
	v_or_b32_e32 v4, v9, v4
	v_lshl_or_b32 v8, v7, 12, v3
	v_cmp_gt_i32_e32 vcc, 1, v7
	v_cndmask_b32_e32 v4, v8, v4, vcc
	v_and_b32_e32 v8, 7, v4
	v_cmp_lt_i32_e32 vcc, 5, v8
	v_cmp_eq_u32_e64 s[0:1], 3, v8
	v_lshrrev_b32_e32 v4, 2, v4
	s_or_b64 vcc, s[0:1], vcc
	v_addc_co_u32_e32 v4, vcc, 0, v4, vcc
	v_cmp_gt_i32_e32 vcc, 31, v7
	v_cndmask_b32_e32 v4, v6, v4, vcc
	v_cmp_ne_u32_e32 vcc, 0, v3
	v_cndmask_b32_e64 v3, 0, 1, vcc
	v_lshl_or_b32 v3, v3, 9, v6
	v_cmp_eq_u32_e32 vcc, s16, v7
	v_cndmask_b32_e32 v3, v4, v3, vcc
	v_lshrrev_b32_e32 v4, 16, v5
	v_and_or_b32 v3, v4, s10, v3
	v_and_b32_e32 v2, 0xffff, v2
	v_lshl_or_b32 v2, v3, 16, v2
	v_mov_b32_e32 v3, s2
	v_add_co_u32_e32 v0, vcc, s3, v0
	v_addc_co_u32_e32 v1, vcc, v1, v3, vcc
	global_store_dword v[0:1], v2, off
.LBB0_15:
	s_endpgm
	.section	.rodata,"a",@progbits
	.p2align	6, 0x0
	.amdhsa_kernel bluestein_single_fwd_len160_dim1_half_op_CI_CI
		.amdhsa_group_segment_fixed_size 10240
		.amdhsa_private_segment_fixed_size 0
		.amdhsa_kernarg_size 104
		.amdhsa_user_sgpr_count 6
		.amdhsa_user_sgpr_private_segment_buffer 1
		.amdhsa_user_sgpr_dispatch_ptr 0
		.amdhsa_user_sgpr_queue_ptr 0
		.amdhsa_user_sgpr_kernarg_segment_ptr 1
		.amdhsa_user_sgpr_dispatch_id 0
		.amdhsa_user_sgpr_flat_scratch_init 0
		.amdhsa_user_sgpr_private_segment_size 0
		.amdhsa_uses_dynamic_stack 0
		.amdhsa_system_sgpr_private_segment_wavefront_offset 0
		.amdhsa_system_sgpr_workgroup_id_x 1
		.amdhsa_system_sgpr_workgroup_id_y 0
		.amdhsa_system_sgpr_workgroup_id_z 0
		.amdhsa_system_sgpr_workgroup_info 0
		.amdhsa_system_vgpr_workitem_id 0
		.amdhsa_next_free_vgpr 66
		.amdhsa_next_free_sgpr 20
		.amdhsa_reserve_vcc 1
		.amdhsa_reserve_flat_scratch 0
		.amdhsa_float_round_mode_32 0
		.amdhsa_float_round_mode_16_64 0
		.amdhsa_float_denorm_mode_32 3
		.amdhsa_float_denorm_mode_16_64 3
		.amdhsa_dx10_clamp 1
		.amdhsa_ieee_mode 1
		.amdhsa_fp16_overflow 0
		.amdhsa_exception_fp_ieee_invalid_op 0
		.amdhsa_exception_fp_denorm_src 0
		.amdhsa_exception_fp_ieee_div_zero 0
		.amdhsa_exception_fp_ieee_overflow 0
		.amdhsa_exception_fp_ieee_underflow 0
		.amdhsa_exception_fp_ieee_inexact 0
		.amdhsa_exception_int_div_zero 0
	.end_amdhsa_kernel
	.text
.Lfunc_end0:
	.size	bluestein_single_fwd_len160_dim1_half_op_CI_CI, .Lfunc_end0-bluestein_single_fwd_len160_dim1_half_op_CI_CI
                                        ; -- End function
	.section	.AMDGPU.csdata,"",@progbits
; Kernel info:
; codeLenInByte = 16556
; NumSgprs: 24
; NumVgprs: 66
; ScratchSize: 0
; MemoryBound: 0
; FloatMode: 240
; IeeeMode: 1
; LDSByteSize: 10240 bytes/workgroup (compile time only)
; SGPRBlocks: 2
; VGPRBlocks: 16
; NumSGPRsForWavesPerEU: 24
; NumVGPRsForWavesPerEU: 66
; Occupancy: 3
; WaveLimiterHint : 1
; COMPUTE_PGM_RSRC2:SCRATCH_EN: 0
; COMPUTE_PGM_RSRC2:USER_SGPR: 6
; COMPUTE_PGM_RSRC2:TRAP_HANDLER: 0
; COMPUTE_PGM_RSRC2:TGID_X_EN: 1
; COMPUTE_PGM_RSRC2:TGID_Y_EN: 0
; COMPUTE_PGM_RSRC2:TGID_Z_EN: 0
; COMPUTE_PGM_RSRC2:TIDIG_COMP_CNT: 0
	.type	__hip_cuid_373d0dbf12386708,@object ; @__hip_cuid_373d0dbf12386708
	.section	.bss,"aw",@nobits
	.globl	__hip_cuid_373d0dbf12386708
__hip_cuid_373d0dbf12386708:
	.byte	0                               ; 0x0
	.size	__hip_cuid_373d0dbf12386708, 1

	.ident	"AMD clang version 19.0.0git (https://github.com/RadeonOpenCompute/llvm-project roc-6.4.0 25133 c7fe45cf4b819c5991fe208aaa96edf142730f1d)"
	.section	".note.GNU-stack","",@progbits
	.addrsig
	.addrsig_sym __hip_cuid_373d0dbf12386708
	.amdgpu_metadata
---
amdhsa.kernels:
  - .args:
      - .actual_access:  read_only
        .address_space:  global
        .offset:         0
        .size:           8
        .value_kind:     global_buffer
      - .actual_access:  read_only
        .address_space:  global
        .offset:         8
        .size:           8
        .value_kind:     global_buffer
      - .actual_access:  read_only
        .address_space:  global
        .offset:         16
        .size:           8
        .value_kind:     global_buffer
      - .actual_access:  read_only
        .address_space:  global
        .offset:         24
        .size:           8
        .value_kind:     global_buffer
      - .actual_access:  read_only
        .address_space:  global
        .offset:         32
        .size:           8
        .value_kind:     global_buffer
      - .offset:         40
        .size:           8
        .value_kind:     by_value
      - .address_space:  global
        .offset:         48
        .size:           8
        .value_kind:     global_buffer
      - .address_space:  global
        .offset:         56
        .size:           8
        .value_kind:     global_buffer
      - .address_space:  global
        .offset:         64
        .size:           8
        .value_kind:     global_buffer
      - .address_space:  global
        .offset:         72
        .size:           8
        .value_kind:     global_buffer
      - .offset:         80
        .size:           4
        .value_kind:     by_value
      - .address_space:  global
        .offset:         88
        .size:           8
        .value_kind:     global_buffer
      - .address_space:  global
        .offset:         96
        .size:           8
        .value_kind:     global_buffer
    .group_segment_fixed_size: 10240
    .kernarg_segment_align: 8
    .kernarg_segment_size: 104
    .language:       OpenCL C
    .language_version:
      - 2
      - 0
    .max_flat_workgroup_size: 256
    .name:           bluestein_single_fwd_len160_dim1_half_op_CI_CI
    .private_segment_fixed_size: 0
    .sgpr_count:     24
    .sgpr_spill_count: 0
    .symbol:         bluestein_single_fwd_len160_dim1_half_op_CI_CI.kd
    .uniform_work_group_size: 1
    .uses_dynamic_stack: false
    .vgpr_count:     66
    .vgpr_spill_count: 0
    .wavefront_size: 64
amdhsa.target:   amdgcn-amd-amdhsa--gfx906
amdhsa.version:
  - 1
  - 2
...

	.end_amdgpu_metadata
